;; amdgpu-corpus repo=ROCm/rocFFT kind=compiled arch=gfx950 opt=O3
	.text
	.amdgcn_target "amdgcn-amd-amdhsa--gfx950"
	.amdhsa_code_object_version 6
	.protected	bluestein_single_fwd_len1375_dim1_dp_op_CI_CI ; -- Begin function bluestein_single_fwd_len1375_dim1_dp_op_CI_CI
	.globl	bluestein_single_fwd_len1375_dim1_dp_op_CI_CI
	.p2align	8
	.type	bluestein_single_fwd_len1375_dim1_dp_op_CI_CI,@function
bluestein_single_fwd_len1375_dim1_dp_op_CI_CI: ; @bluestein_single_fwd_len1375_dim1_dp_op_CI_CI
; %bb.0:
	s_load_dwordx4 s[8:11], s[0:1], 0x28
	v_mul_u32_u24_e32 v1, 0x4a8, v0
	v_mov_b32_e32 v251, 0
	v_add_u32_sdwa v6, s2, v1 dst_sel:DWORD dst_unused:UNUSED_PAD src0_sel:DWORD src1_sel:WORD_1
	v_mov_b32_e32 v7, v251
	s_waitcnt lgkmcnt(0)
	v_cmp_gt_u64_e32 vcc, s[8:9], v[6:7]
	s_and_saveexec_b64 s[2:3], vcc
	s_cbranch_execz .LBB0_15
; %bb.1:
	s_load_dwordx4 s[4:7], s[0:1], 0x18
	s_load_dwordx2 s[2:3], s[0:1], 0x0
	v_mov_b32_e32 v2, s10
	v_mov_b32_e32 v3, s11
	;; [unrolled: 1-line block ×3, first 2 shown]
	s_waitcnt lgkmcnt(0)
	s_load_dwordx4 s[8:11], s[4:5], 0x0
	v_mul_lo_u16_sdwa v1, v1, v4 dst_sel:DWORD dst_unused:UNUSED_PAD src0_sel:WORD_1 src1_sel:DWORD
	v_sub_u16_e32 v250, v0, v1
	v_accvgpr_write_b32 a20, v6
	v_lshlrev_b32_e32 v208, 4, v250
	s_waitcnt lgkmcnt(0)
	v_mad_u64_u32 v[0:1], s[4:5], s10, v6, 0
	v_mov_b32_e32 v4, v1
	v_mad_u64_u32 v[4:5], s[4:5], s11, v6, v[4:5]
	v_mov_b32_e32 v1, v4
	v_mad_u64_u32 v[4:5], s[4:5], s8, v250, 0
	v_mov_b32_e32 v6, v5
	v_mad_u64_u32 v[6:7], s[4:5], s9, v250, v[6:7]
	v_mov_b32_e32 v5, v6
	v_lshl_add_u64 v[16:17], v[0:1], 4, v[2:3]
	v_lshl_add_u64 v[4:5], v[4:5], 4, v[16:17]
	global_load_dwordx4 v[60:63], v208, s[2:3]
	global_load_dwordx4 v[0:3], v[4:5], off
	s_mul_i32 s4, s9, 0x7d
	s_mul_hi_u32 s5, s8, 0x7d
	s_add_i32 s5, s5, s4
	s_mul_i32 s4, s8, 0x7d
	s_lshl_b64 s[12:13], s[4:5], 4
	v_lshl_add_u64 v[8:9], v[4:5], 0, s[12:13]
	global_load_dwordx4 v[64:67], v208, s[2:3] offset:2000
	global_load_dwordx4 v[4:7], v[8:9], off
	global_load_dwordx4 v[72:75], v208, s[2:3] offset:4000
	v_lshl_add_u64 v[12:13], v[8:9], 0, s[12:13]
	global_load_dwordx4 v[8:11], v[12:13], off
	v_mov_b32_e32 v209, v251
	s_movk_i32 s4, 0x1000
	v_lshl_add_u64 v[210:211], s[2:3], 0, v[208:209]
	v_add_co_u32_e32 v18, vcc, s4, v210
	v_lshl_add_u64 v[20:21], v[12:13], 0, s[12:13]
	s_nop 0
	v_addc_co_u32_e32 v19, vcc, 0, v211, vcc
	global_load_dwordx4 v[76:79], v[18:19], off offset:1904
	global_load_dwordx4 v[154:157], v[18:19], off offset:3904
	global_load_dwordx4 v[12:15], v[20:21], off
	v_lshl_add_u64 v[30:31], v[20:21], 0, s[12:13]
	global_load_dwordx4 v[26:29], v[30:31], off
	s_movk_i32 s14, 0x2000
	v_add_co_u32_e32 v24, vcc, s14, v210
	s_movk_i32 s15, 0x3000
	s_nop 0
	v_addc_co_u32_e32 v25, vcc, 0, v211, vcc
	v_lshl_add_u64 v[34:35], v[30:31], 0, s[12:13]
	v_add_co_u32_e32 v22, vcc, s15, v210
	global_load_dwordx4 v[150:153], v[24:25], off offset:1808
	global_load_dwordx4 v[30:33], v[34:35], off
	s_movk_i32 s16, 0x4000
	v_addc_co_u32_e32 v23, vcc, 0, v211, vcc
	v_add_co_u32_e32 v20, vcc, s16, v210
	s_movk_i32 s17, 0x5000
	s_load_dwordx4 s[4:7], s[6:7], 0x0
	v_addc_co_u32_e32 v21, vcc, 0, v211, vcc
	global_load_dwordx4 v[146:149], v[24:25], off offset:3808
	global_load_dwordx4 v[142:145], v[22:23], off offset:1712
	v_lshl_add_u64 v[38:39], v[34:35], 0, s[12:13]
	v_add_co_u32_e32 v42, vcc, s17, v210
	v_lshl_add_u64 v[44:45], v[38:39], 0, s[12:13]
	s_nop 0
	v_addc_co_u32_e32 v43, vcc, 0, v211, vcc
	global_load_dwordx4 v[34:37], v[38:39], off
	global_load_dwordx4 v[138:141], v[22:23], off offset:3712
	global_load_dwordx4 v[134:137], v[20:21], off offset:1616
	;; [unrolled: 1-line block ×3, first 2 shown]
	s_nop 0
	global_load_dwordx4 v[38:41], v[44:45], off
	global_load_dwordx4 v[86:89], v[42:43], off offset:400
	v_lshl_add_u64 v[46:47], v[44:45], 0, s[12:13]
	global_load_dwordx4 v[42:45], v[46:47], off
	v_lshl_add_u64 v[50:51], v[46:47], 0, s[12:13]
	s_mul_hi_u32 s15, s8, 0xfffffb55
	global_load_dwordx4 v[46:49], v[50:51], off
	s_mul_i32 s14, s9, 0xfffffb55
	s_sub_i32 s15, s15, s8
	v_lshl_add_u64 v[58:59], v[50:51], 0, s[12:13]
	s_add_i32 s17, s15, s14
	global_load_dwordx4 v[50:53], v[58:59], off
	s_mul_i32 s16, s8, 0xfffffb55
	s_load_dwordx2 s[10:11], s[0:1], 0x38
	v_cmp_gt_u16_e32 vcc, 15, v250
	s_waitcnt vmcnt(22)
	v_accvgpr_write_b32 a0, v60
	s_waitcnt vmcnt(21)
	v_mul_f64 v[54:55], v[2:3], v[62:63]
	v_mul_f64 v[56:57], v[0:1], v[62:63]
	v_fmac_f64_e32 v[54:55], v[0:1], v[60:61]
	v_fma_f64 v[56:57], v[2:3], v[60:61], -v[56:57]
	ds_write_b128 v208, v[54:57]
	v_lshl_add_u64 v[2:3], s[16:17], 4, v[58:59]
	v_accvgpr_write_b32 a1, v61
	v_accvgpr_write_b32 a2, v62
	;; [unrolled: 1-line block ×3, first 2 shown]
	global_load_dwordx4 v[54:57], v[2:3], off
	global_load_dwordx4 v[130:133], v208, s[2:3] offset:880
	v_lshl_add_u64 v[62:63], v[2:3], 0, s[12:13]
	s_waitcnt vmcnt(21)
	v_mul_f64 v[0:1], v[6:7], v[66:67]
	global_load_dwordx4 v[58:61], v[62:63], off
	global_load_dwordx4 v[126:129], v208, s[2:3] offset:2880
	v_mul_f64 v[2:3], v[4:5], v[66:67]
	v_lshl_add_u64 v[62:63], v[62:63], 0, s[12:13]
	v_fmac_f64_e32 v[0:1], v[4:5], v[64:65]
	v_fma_f64 v[2:3], v[6:7], v[64:65], -v[2:3]
	global_load_dwordx4 v[4:7], v[62:63], off
	global_load_dwordx4 v[122:125], v[18:19], off offset:784
	v_accvgpr_write_b32 a4, v64
	ds_write_b128 v208, v[0:3] offset:2000
	v_lshl_add_u64 v[2:3], v[62:63], 0, s[12:13]
	v_accvgpr_write_b32 a5, v65
	v_accvgpr_write_b32 a6, v66
	;; [unrolled: 1-line block ×3, first 2 shown]
	s_waitcnt vmcnt(23)
	v_mul_f64 v[0:1], v[10:11], v[74:75]
	global_load_dwordx4 v[62:65], v[2:3], off
	global_load_dwordx4 v[118:121], v[18:19], off offset:2784
	v_fmac_f64_e32 v[0:1], v[8:9], v[72:73]
	v_mul_f64 v[8:9], v[8:9], v[74:75]
	v_lshl_add_u64 v[70:71], v[2:3], 0, s[12:13]
	global_load_dwordx4 v[66:69], v[70:71], off
	global_load_dwordx4 v[114:117], v[24:25], off offset:688
	v_fma_f64 v[2:3], v[10:11], v[72:73], -v[8:9]
	ds_write_b128 v208, v[0:3] offset:4000
	v_lshl_add_u64 v[2:3], v[70:71], 0, s[12:13]
	v_accvgpr_write_b32 a8, v72
	global_load_dwordx4 v[8:11], v[2:3], off
	global_load_dwordx4 v[106:109], v[24:25], off offset:2688
	v_accvgpr_write_b32 a9, v73
	v_accvgpr_write_b32 a10, v74
	;; [unrolled: 1-line block ×3, first 2 shown]
	v_lshl_add_u64 v[74:75], v[2:3], 0, s[12:13]
	global_load_dwordx4 v[70:73], v[74:75], off
	global_load_dwordx4 v[102:105], v[22:23], off offset:592
	s_waitcnt vmcnt(28)
	v_mul_f64 v[0:1], v[14:15], v[78:79]
	v_mul_f64 v[2:3], v[12:13], v[78:79]
	v_lshl_add_u64 v[74:75], v[74:75], 0, s[12:13]
	v_fmac_f64_e32 v[0:1], v[12:13], v[76:77]
	v_fma_f64 v[2:3], v[14:15], v[76:77], -v[2:3]
	global_load_dwordx4 v[12:15], v[74:75], off
	global_load_dwordx4 v[98:101], v[22:23], off offset:2592
	v_accvgpr_write_b32 a12, v76
	ds_write_b128 v208, v[0:3] offset:6000
	v_lshl_add_u64 v[2:3], v[74:75], 0, s[12:13]
	v_accvgpr_write_b32 a13, v77
	v_accvgpr_write_b32 a14, v78
	;; [unrolled: 1-line block ×3, first 2 shown]
	s_waitcnt vmcnt(29)
	v_mul_f64 v[0:1], v[28:29], v[156:157]
	global_load_dwordx4 v[74:77], v[2:3], off
	global_load_dwordx4 v[94:97], v[20:21], off offset:496
	v_fmac_f64_e32 v[0:1], v[26:27], v[154:155]
	v_mul_f64 v[26:27], v[26:27], v[156:157]
	v_lshl_add_u64 v[82:83], v[2:3], 0, s[12:13]
	global_load_dwordx4 v[78:81], v[82:83], off
	global_load_dwordx4 v[90:93], v[20:21], off offset:2496
	v_fma_f64 v[2:3], v[28:29], v[154:155], -v[26:27]
	ds_write_b128 v208, v[0:3] offset:8000
	v_lshl_add_u64 v[0:1], v[82:83], 0, s[12:13]
	global_load_dwordx4 v[82:85], v[0:1], off
	s_waitcnt vmcnt(32)
	v_mul_f64 v[26:27], v[32:33], v[152:153]
	v_mul_f64 v[2:3], v[30:31], v[152:153]
	v_fmac_f64_e32 v[26:27], v[30:31], v[150:151]
	v_fma_f64 v[28:29], v[32:33], v[150:151], -v[2:3]
	ds_write_b128 v208, v[26:29] offset:10000
	s_waitcnt vmcnt(29)
	v_mul_f64 v[26:27], v[36:37], v[148:149]
	v_mul_f64 v[2:3], v[34:35], v[148:149]
	v_fmac_f64_e32 v[26:27], v[34:35], v[146:147]
	v_fma_f64 v[28:29], v[36:37], v[146:147], -v[2:3]
	ds_write_b128 v208, v[26:29] offset:12000
	;; [unrolled: 6-line block ×6, first 2 shown]
	s_waitcnt vmcnt(19)
	v_mul_f64 v[26:27], v[56:57], v[132:133]
	v_mul_f64 v[2:3], v[54:55], v[132:133]
	v_fmac_f64_e32 v[26:27], v[54:55], v[130:131]
	v_fma_f64 v[28:29], v[56:57], v[130:131], -v[2:3]
	s_waitcnt vmcnt(17)
	v_mul_f64 v[2:3], v[58:59], v[128:129]
	ds_write_b128 v208, v[26:29] offset:880
	v_fma_f64 v[28:29], v[60:61], v[126:127], -v[2:3]
	s_waitcnt vmcnt(15)
	v_mul_f64 v[2:3], v[6:7], v[124:125]
	v_fmac_f64_e32 v[2:3], v[4:5], v[122:123]
	v_mul_f64 v[4:5], v[4:5], v[124:125]
	v_fma_f64 v[4:5], v[6:7], v[122:123], -v[4:5]
	ds_write_b128 v208, v[2:5] offset:4880
	v_accvgpr_write_b32 a86, v154
	s_waitcnt vmcnt(13)
	v_mul_f64 v[2:3], v[64:65], v[120:121]
	v_mul_f64 v[4:5], v[62:63], v[120:121]
	v_fmac_f64_e32 v[2:3], v[62:63], v[118:119]
	v_fma_f64 v[4:5], v[64:65], v[118:119], -v[4:5]
	ds_write_b128 v208, v[2:5] offset:6880
	s_waitcnt vmcnt(11)
	v_mul_f64 v[2:3], v[68:69], v[116:117]
	v_mul_f64 v[4:5], v[66:67], v[116:117]
	v_fmac_f64_e32 v[2:3], v[66:67], v[114:115]
	v_fma_f64 v[4:5], v[68:69], v[114:115], -v[4:5]
	ds_write_b128 v208, v[2:5] offset:8880
	;; [unrolled: 6-line block ×5, first 2 shown]
	v_accvgpr_write_b32 a82, v150
	v_accvgpr_write_b32 a78, v146
	;; [unrolled: 1-line block ×3, first 2 shown]
	s_waitcnt vmcnt(3)
	v_mul_f64 v[2:3], v[76:77], v[96:97]
	v_mul_f64 v[4:5], v[74:75], v[96:97]
	v_fmac_f64_e32 v[2:3], v[74:75], v[94:95]
	v_fma_f64 v[4:5], v[76:77], v[94:95], -v[4:5]
	ds_write_b128 v208, v[2:5] offset:16880
	s_waitcnt vmcnt(1)
	v_mul_f64 v[2:3], v[80:81], v[92:93]
	v_mul_f64 v[4:5], v[78:79], v[92:93]
	v_fmac_f64_e32 v[2:3], v[78:79], v[90:91]
	v_fma_f64 v[4:5], v[80:81], v[90:91], -v[4:5]
	v_accvgpr_write_b32 a70, v138
	v_accvgpr_write_b32 a66, v134
	;; [unrolled: 1-line block ×4, first 2 shown]
	v_mul_f64 v[26:27], v[60:61], v[128:129]
	v_accvgpr_write_b32 a58, v126
	v_accvgpr_write_b32 a54, v122
	;; [unrolled: 1-line block ×9, first 2 shown]
	ds_write_b128 v208, v[2:5] offset:18880
	s_waitcnt vmcnt(0)
	v_mul_f64 v[2:3], v[84:85], v[88:89]
	v_mul_f64 v[4:5], v[82:83], v[88:89]
	v_accvgpr_write_b32 a16, v86
	v_accvgpr_write_b32 a87, v155
	;; [unrolled: 1-line block ×25, first 2 shown]
	v_fmac_f64_e32 v[26:27], v[58:59], v[126:127]
	v_accvgpr_write_b32 a59, v127
	v_accvgpr_write_b32 a60, v128
	;; [unrolled: 1-line block ×27, first 2 shown]
	v_fmac_f64_e32 v[2:3], v[82:83], v[86:87]
	v_accvgpr_write_b32 a17, v87
	v_accvgpr_write_b32 a18, v88
	;; [unrolled: 1-line block ×3, first 2 shown]
	v_fma_f64 v[4:5], v[84:85], v[86:87], -v[4:5]
	ds_write_b128 v208, v[26:29] offset:2880
	ds_write_b128 v208, v[2:5] offset:20880
	s_and_saveexec_b64 s[14:15], vcc
	s_cbranch_execz .LBB0_3
; %bb.2:
	v_lshl_add_u64 v[8:9], s[16:17], 4, v[0:1]
	v_lshl_add_u64 v[26:27], v[8:9], 0, s[12:13]
	;; [unrolled: 1-line block ×3, first 2 shown]
	global_load_dwordx4 v[0:3], v[8:9], off
	global_load_dwordx4 v[4:7], v[210:211], off offset:1760
	v_lshl_add_u64 v[42:43], v[30:31], 0, s[12:13]
	global_load_dwordx4 v[8:11], v[26:27], off
	global_load_dwordx4 v[12:15], v[210:211], off offset:3760
	v_or_b32_e32 v58, 0x550, v250
	global_load_dwordx4 v[26:29], v[30:31], off
	s_nop 0
	global_load_dwordx4 v[30:33], v[42:43], off
	global_load_dwordx4 v[34:37], v[18:19], off offset:1664
	global_load_dwordx4 v[38:41], v[18:19], off offset:3664
	v_lshl_add_u64 v[18:19], v[42:43], 0, s[12:13]
	global_load_dwordx4 v[42:45], v[18:19], off
	v_lshl_add_u64 v[62:63], v[18:19], 0, s[12:13]
	v_mad_u64_u32 v[18:19], s[16:17], s8, v58, 0
	global_load_dwordx4 v[46:49], v[62:63], off
	global_load_dwordx4 v[50:53], v[24:25], off offset:1568
	global_load_dwordx4 v[54:57], v[24:25], off offset:3568
	v_mov_b32_e32 v24, v19
	v_mad_u64_u32 v[24:25], s[8:9], s9, v58, v[24:25]
	v_mov_b32_e32 v19, v24
	v_lshl_add_u64 v[70:71], v[62:63], 0, s[12:13]
	v_lshl_add_u64 v[24:25], v[18:19], 4, v[16:17]
	v_lshlrev_b32_e32 v16, 4, v58
	v_lshl_add_u64 v[74:75], v[70:71], 0, s[12:13]
	global_load_dwordx4 v[16:19], v16, s[2:3]
	s_nop 0
	global_load_dwordx4 v[58:61], v[24:25], off
	global_load_dwordx4 v[62:65], v[70:71], off
	global_load_dwordx4 v[66:69], v[22:23], off offset:1472
	s_nop 0
	global_load_dwordx4 v[22:25], v[22:23], off offset:3472
	v_lshl_add_u64 v[86:87], v[74:75], 0, s[12:13]
	global_load_dwordx4 v[70:73], v[74:75], off
	s_nop 0
	global_load_dwordx4 v[74:77], v[86:87], off
	global_load_dwordx4 v[78:81], v[20:21], off offset:1376
	global_load_dwordx4 v[82:85], v[20:21], off offset:3376
	v_lshl_add_u64 v[20:21], v[86:87], 0, s[12:13]
	global_load_dwordx4 v[86:89], v[20:21], off
	s_waitcnt vmcnt(20)
	v_mul_f64 v[90:91], v[2:3], v[6:7]
	v_mul_f64 v[6:7], v[0:1], v[6:7]
	v_fmac_f64_e32 v[90:91], v[0:1], v[4:5]
	v_fma_f64 v[92:93], v[2:3], v[4:5], -v[6:7]
	s_waitcnt vmcnt(18)
	v_mul_f64 v[0:1], v[10:11], v[14:15]
	v_mul_f64 v[2:3], v[8:9], v[14:15]
	v_fmac_f64_e32 v[0:1], v[8:9], v[12:13]
	v_fma_f64 v[2:3], v[10:11], v[12:13], -v[2:3]
	ds_write_b128 v208, v[0:3] offset:3760
	s_waitcnt vmcnt(14)
	v_mul_f64 v[0:1], v[32:33], v[40:41]
	v_mul_f64 v[2:3], v[30:31], v[40:41]
	v_fmac_f64_e32 v[0:1], v[30:31], v[38:39]
	v_fma_f64 v[2:3], v[32:33], v[38:39], -v[2:3]
	v_mul_f64 v[4:5], v[28:29], v[36:37]
	v_mul_f64 v[6:7], v[26:27], v[36:37]
	ds_write_b128 v208, v[0:3] offset:7760
	s_waitcnt vmcnt(10)
	v_mul_f64 v[0:1], v[48:49], v[56:57]
	v_mul_f64 v[2:3], v[46:47], v[56:57]
	v_fmac_f64_e32 v[4:5], v[26:27], v[34:35]
	v_fma_f64 v[6:7], v[28:29], v[34:35], -v[6:7]
	v_fmac_f64_e32 v[0:1], v[46:47], v[54:55]
	v_fma_f64 v[2:3], v[48:49], v[54:55], -v[2:3]
	ds_write_b128 v208, v[4:7] offset:5760
	v_mul_f64 v[4:5], v[44:45], v[52:53]
	v_mul_f64 v[6:7], v[42:43], v[52:53]
	ds_write_b128 v208, v[0:3] offset:11760
	s_waitcnt vmcnt(4)
	v_mul_f64 v[0:1], v[72:73], v[24:25]
	v_mul_f64 v[2:3], v[70:71], v[24:25]
	v_fmac_f64_e32 v[4:5], v[42:43], v[50:51]
	v_fma_f64 v[6:7], v[44:45], v[50:51], -v[6:7]
	v_fmac_f64_e32 v[0:1], v[70:71], v[22:23]
	v_fma_f64 v[2:3], v[72:73], v[22:23], -v[2:3]
	ds_write_b128 v208, v[4:7] offset:9760
	v_mul_f64 v[4:5], v[64:65], v[68:69]
	v_mul_f64 v[6:7], v[62:63], v[68:69]
	ds_write_b128 v208, v[0:3] offset:15760
	s_waitcnt vmcnt(0)
	v_mul_f64 v[0:1], v[88:89], v[84:85]
	v_mul_f64 v[2:3], v[86:87], v[84:85]
	v_fmac_f64_e32 v[4:5], v[62:63], v[66:67]
	v_fma_f64 v[6:7], v[64:65], v[66:67], -v[6:7]
	v_fmac_f64_e32 v[0:1], v[86:87], v[82:83]
	v_fma_f64 v[2:3], v[88:89], v[82:83], -v[2:3]
	v_mul_f64 v[8:9], v[60:61], v[18:19]
	ds_write_b128 v208, v[4:7] offset:13760
	v_mul_f64 v[4:5], v[76:77], v[80:81]
	v_mul_f64 v[6:7], v[74:75], v[80:81]
	ds_write_b128 v208, v[0:3] offset:19760
	v_mul_f64 v[0:1], v[58:59], v[18:19]
	v_fmac_f64_e32 v[8:9], v[58:59], v[16:17]
	v_fmac_f64_e32 v[4:5], v[74:75], v[78:79]
	v_fma_f64 v[6:7], v[76:77], v[78:79], -v[6:7]
	v_fma_f64 v[10:11], v[60:61], v[16:17], -v[0:1]
	ds_write_b128 v208, v[90:93] offset:1760
	ds_write_b128 v208, v[4:7] offset:17760
	;; [unrolled: 1-line block ×3, first 2 shown]
.LBB0_3:
	s_or_b64 exec, exec, s[14:15]
	s_waitcnt lgkmcnt(0)
	; wave barrier
	s_waitcnt lgkmcnt(0)
	ds_read_b128 v[116:119], v208
	ds_read_b128 v[72:75], v208 offset:880
	ds_read_b128 v[128:131], v208 offset:2000
	;; [unrolled: 1-line block ×21, first 2 shown]
	s_load_dwordx2 s[8:9], s[0:1], 0x8
                                        ; implicit-def: $vgpr0_vgpr1
                                        ; implicit-def: $vgpr4_vgpr5
                                        ; implicit-def: $vgpr8_vgpr9
                                        ; implicit-def: $vgpr12_vgpr13
                                        ; implicit-def: $vgpr16_vgpr17
                                        ; implicit-def: $vgpr20_vgpr21
                                        ; implicit-def: $vgpr24_vgpr25
                                        ; implicit-def: $vgpr28_vgpr29
                                        ; implicit-def: $vgpr32_vgpr33
                                        ; implicit-def: $vgpr36_vgpr37
                                        ; implicit-def: $vgpr40_vgpr41
	s_and_saveexec_b64 s[0:1], vcc
	s_cbranch_execz .LBB0_5
; %bb.4:
	ds_read_b128 v[0:3], v208 offset:1760
	ds_read_b128 v[4:7], v208 offset:3760
	;; [unrolled: 1-line block ×11, first 2 shown]
.LBB0_5:
	s_or_b64 exec, exec, s[0:1]
	s_waitcnt lgkmcnt(0)
	v_add_f64 v[52:53], v[116:117], v[128:129]
	v_add_f64 v[54:55], v[118:119], v[130:131]
	;; [unrolled: 1-line block ×13, first 2 shown]
	s_mov_b64 s[0:1], 0x6e
	v_add_f64 v[54:55], v[54:55], v[106:107]
	v_add_f64 v[52:53], v[52:53], v[112:113]
	s_mov_b32 s22, 0xf8bb580b
	s_mov_b32 s30, 0x8eee2c13
	s_mov_b32 s20, 0x43842ef
	s_mov_b32 s24, 0xbb3a28a1
	s_mov_b32 s26, 0xfd768dbf
	v_lshl_add_u64 v[136:137], v[250:251], 0, s[0:1]
	v_add_f64 v[54:55], v[54:55], v[114:115]
	v_add_f64 v[52:53], v[52:53], v[124:125]
	;; [unrolled: 1-line block ×3, first 2 shown]
	v_add_f64 v[130:131], v[130:131], -v[134:135]
	s_mov_b32 s23, 0xbfe14ced
	s_mov_b32 s0, 0x8764f0ba
	s_mov_b32 s31, 0xbfed1bb4
	s_mov_b32 s12, 0xd9c712b6
	s_mov_b32 s21, 0xbfefac9e
	s_mov_b32 s14, 0x640f44db
	s_mov_b32 s25, 0xbfe82f19
	s_mov_b32 s16, 0x7f775887
	s_mov_b32 s27, 0xbfd207e7
	s_mov_b32 s18, 0x9bcd5057
	v_add_f64 v[54:55], v[54:55], v[126:127]
	v_add_f64 v[52:53], v[52:53], v[132:133]
	;; [unrolled: 1-line block ×3, first 2 shown]
	v_add_f64 v[128:129], v[128:129], -v[132:133]
	v_mul_f64 v[132:133], v[130:131], s[22:23]
	s_mov_b32 s1, 0x3feaeb8c
	v_mul_f64 v[148:149], v[130:131], s[30:31]
	s_mov_b32 s13, 0x3fda9628
	v_mul_f64 v[156:157], v[130:131], s[20:21]
	s_mov_b32 s15, 0xbfc2375f
	v_mul_f64 v[164:165], v[130:131], s[24:25]
	s_mov_b32 s17, 0xbfe4f49e
	v_mul_f64 v[130:131], v[130:131], s[26:27]
	s_mov_b32 s19, 0xbfeeb42a
	v_add_f64 v[54:55], v[54:55], v[134:135]
	v_fma_f64 v[134:135], v[140:141], s[0:1], -v[132:133]
	v_mul_f64 v[144:145], v[128:129], s[22:23]
	v_fmac_f64_e32 v[132:133], s[0:1], v[140:141]
	v_fma_f64 v[150:151], v[140:141], s[12:13], -v[148:149]
	v_mul_f64 v[152:153], v[128:129], s[30:31]
	v_fmac_f64_e32 v[148:149], s[12:13], v[140:141]
	;; [unrolled: 3-line block ×5, first 2 shown]
	v_add_f64 v[134:135], v[116:117], v[134:135]
	v_fma_f64 v[146:147], s[0:1], v[142:143], v[144:145]
	v_add_f64 v[132:133], v[116:117], v[132:133]
	v_fma_f64 v[144:145], v[142:143], s[0:1], -v[144:145]
	v_add_f64 v[150:151], v[116:117], v[150:151]
	v_fma_f64 v[154:155], s[12:13], v[142:143], v[152:153]
	v_add_f64 v[148:149], v[116:117], v[148:149]
	v_fma_f64 v[152:153], v[142:143], s[12:13], -v[152:153]
	;; [unrolled: 4-line block ×5, first 2 shown]
	v_add_f64 v[130:131], v[122:123], v[126:127]
	v_add_f64 v[122:123], v[122:123], -v[126:127]
	v_add_f64 v[146:147], v[118:119], v[146:147]
	v_add_f64 v[144:145], v[118:119], v[144:145]
	;; [unrolled: 1-line block ×11, first 2 shown]
	v_add_f64 v[120:121], v[120:121], -v[124:125]
	v_mul_f64 v[124:125], v[122:123], s[30:31]
	v_fma_f64 v[126:127], v[128:129], s[12:13], -v[124:125]
	v_add_f64 v[126:127], v[126:127], v[134:135]
	v_mul_f64 v[134:135], v[120:121], s[30:31]
	v_fmac_f64_e32 v[124:125], s[12:13], v[128:129]
	v_fma_f64 v[140:141], s[12:13], v[130:131], v[134:135]
	v_add_f64 v[124:125], v[124:125], v[132:133]
	v_fma_f64 v[132:133], v[130:131], s[12:13], -v[134:135]
	v_mul_f64 v[134:135], v[122:123], s[24:25]
	v_fma_f64 v[142:143], v[128:129], s[16:17], -v[134:135]
	v_fmac_f64_e32 v[134:135], s[16:17], v[128:129]
	s_mov_b32 s39, 0x3fd207e7
	s_mov_b32 s38, s26
	v_add_f64 v[132:133], v[132:133], v[144:145]
	v_mul_f64 v[144:145], v[120:121], s[24:25]
	v_add_f64 v[134:135], v[134:135], v[148:149]
	v_mul_f64 v[148:149], v[122:123], s[38:39]
	v_add_f64 v[140:141], v[140:141], v[146:147]
	v_add_f64 v[142:143], v[142:143], v[150:151]
	v_fma_f64 v[146:147], s[16:17], v[130:131], v[144:145]
	v_fma_f64 v[144:145], v[130:131], s[16:17], -v[144:145]
	v_fma_f64 v[150:151], v[128:129], s[18:19], -v[148:149]
	v_fmac_f64_e32 v[148:149], s[18:19], v[128:129]
	s_mov_b32 s37, 0x3fefac9e
	s_mov_b32 s36, s20
	v_add_f64 v[144:145], v[144:145], v[152:153]
	v_mul_f64 v[152:153], v[120:121], s[38:39]
	v_add_f64 v[148:149], v[148:149], v[156:157]
	v_mul_f64 v[156:157], v[122:123], s[36:37]
	s_mov_b32 s29, 0x3fe14ced
	s_mov_b32 s28, s22
	v_add_f64 v[146:147], v[146:147], v[154:155]
	v_add_f64 v[150:151], v[150:151], v[158:159]
	v_fma_f64 v[154:155], s[18:19], v[130:131], v[152:153]
	v_fma_f64 v[152:153], v[130:131], s[18:19], -v[152:153]
	v_fma_f64 v[158:159], v[128:129], s[14:15], -v[156:157]
	v_fmac_f64_e32 v[156:157], s[14:15], v[128:129]
	v_mul_f64 v[122:123], v[122:123], s[28:29]
	v_add_f64 v[152:153], v[152:153], v[160:161]
	v_mul_f64 v[160:161], v[120:121], s[36:37]
	v_add_f64 v[156:157], v[156:157], v[164:165]
	v_fma_f64 v[164:165], v[128:129], s[0:1], -v[122:123]
	v_mul_f64 v[120:121], v[120:121], s[28:29]
	v_fmac_f64_e32 v[122:123], s[0:1], v[128:129]
	v_add_f64 v[158:159], v[158:159], v[166:167]
	v_fma_f64 v[166:167], s[0:1], v[130:131], v[120:121]
	v_add_f64 v[116:117], v[122:123], v[116:117]
	v_fma_f64 v[120:121], v[130:131], s[0:1], -v[120:121]
	v_add_f64 v[122:123], v[110:111], v[114:115]
	v_add_f64 v[110:111], v[110:111], -v[114:115]
	v_add_f64 v[118:119], v[120:121], v[118:119]
	v_add_f64 v[120:121], v[108:109], v[112:113]
	v_add_f64 v[108:109], v[108:109], -v[112:113]
	v_mul_f64 v[112:113], v[110:111], s[20:21]
	v_fma_f64 v[114:115], v[120:121], s[14:15], -v[112:113]
	v_add_f64 v[114:115], v[114:115], v[126:127]
	v_mul_f64 v[126:127], v[108:109], s[20:21]
	v_fmac_f64_e32 v[112:113], s[14:15], v[120:121]
	v_fma_f64 v[128:129], s[14:15], v[122:123], v[126:127]
	v_add_f64 v[112:113], v[112:113], v[124:125]
	v_fma_f64 v[124:125], v[122:123], s[14:15], -v[126:127]
	v_mul_f64 v[126:127], v[110:111], s[38:39]
	v_add_f64 v[154:155], v[154:155], v[162:163]
	v_fma_f64 v[162:163], s[14:15], v[130:131], v[160:161]
	v_fma_f64 v[160:161], v[130:131], s[14:15], -v[160:161]
	v_add_f64 v[124:125], v[124:125], v[132:133]
	v_fma_f64 v[130:131], v[120:121], s[18:19], -v[126:127]
	v_mul_f64 v[132:133], v[108:109], s[38:39]
	v_fmac_f64_e32 v[126:127], s[18:19], v[120:121]
	s_mov_b32 s35, 0x3fed1bb4
	s_mov_b32 s34, s30
	v_add_f64 v[128:129], v[128:129], v[140:141]
	v_fma_f64 v[140:141], s[18:19], v[122:123], v[132:133]
	v_add_f64 v[126:127], v[126:127], v[134:135]
	v_fma_f64 v[132:133], v[122:123], s[18:19], -v[132:133]
	v_mul_f64 v[134:135], v[110:111], s[34:35]
	v_add_f64 v[130:131], v[130:131], v[142:143]
	v_add_f64 v[132:133], v[132:133], v[144:145]
	v_fma_f64 v[142:143], v[120:121], s[12:13], -v[134:135]
	v_mul_f64 v[144:145], v[108:109], s[34:35]
	v_fmac_f64_e32 v[134:135], s[12:13], v[120:121]
	v_add_f64 v[140:141], v[140:141], v[146:147]
	v_fma_f64 v[146:147], s[12:13], v[122:123], v[144:145]
	v_add_f64 v[134:135], v[134:135], v[148:149]
	v_fma_f64 v[144:145], v[122:123], s[12:13], -v[144:145]
	v_mul_f64 v[148:149], v[110:111], s[22:23]
	v_add_f64 v[142:143], v[142:143], v[150:151]
	v_add_f64 v[144:145], v[144:145], v[152:153]
	v_fma_f64 v[150:151], v[120:121], s[0:1], -v[148:149]
	v_mul_f64 v[152:153], v[108:109], s[22:23]
	v_mul_f64 v[108:109], v[108:109], s[24:25]
	v_add_f64 v[150:151], v[150:151], v[158:159]
	v_fmac_f64_e32 v[148:149], s[0:1], v[120:121]
	v_mul_f64 v[110:111], v[110:111], s[24:25]
	v_fma_f64 v[158:159], s[16:17], v[122:123], v[108:109]
	v_fma_f64 v[108:109], v[122:123], s[16:17], -v[108:109]
	v_add_f64 v[148:149], v[148:149], v[156:157]
	v_fma_f64 v[156:157], v[120:121], s[16:17], -v[110:111]
	v_fmac_f64_e32 v[110:111], s[16:17], v[120:121]
	v_add_f64 v[108:109], v[108:109], v[118:119]
	v_add_f64 v[118:119], v[102:103], v[106:107]
	v_add_f64 v[102:103], v[102:103], -v[106:107]
	v_add_f64 v[110:111], v[110:111], v[116:117]
	v_add_f64 v[116:117], v[100:101], v[104:105]
	v_add_f64 v[100:101], v[100:101], -v[104:105]
	v_mul_f64 v[104:105], v[102:103], s[24:25]
	v_fma_f64 v[106:107], v[116:117], s[16:17], -v[104:105]
	v_add_f64 v[106:107], v[106:107], v[114:115]
	v_mul_f64 v[114:115], v[100:101], s[24:25]
	v_fmac_f64_e32 v[104:105], s[16:17], v[116:117]
	v_fma_f64 v[120:121], s[16:17], v[118:119], v[114:115]
	v_add_f64 v[104:105], v[104:105], v[112:113]
	v_fma_f64 v[112:113], v[118:119], s[16:17], -v[114:115]
	v_mul_f64 v[114:115], v[102:103], s[36:37]
	v_add_f64 v[146:147], v[146:147], v[154:155]
	v_fma_f64 v[154:155], s[0:1], v[122:123], v[152:153]
	v_fma_f64 v[152:153], v[122:123], s[0:1], -v[152:153]
	v_fma_f64 v[122:123], v[116:117], s[14:15], -v[114:115]
	v_fmac_f64_e32 v[114:115], s[14:15], v[116:117]
	v_add_f64 v[112:113], v[112:113], v[124:125]
	v_mul_f64 v[124:125], v[100:101], s[36:37]
	v_add_f64 v[114:115], v[114:115], v[126:127]
	v_mul_f64 v[126:127], v[102:103], s[22:23]
	v_add_f64 v[120:121], v[120:121], v[128:129]
	v_add_f64 v[122:123], v[122:123], v[130:131]
	v_fma_f64 v[128:129], s[14:15], v[118:119], v[124:125]
	v_fma_f64 v[124:125], v[118:119], s[14:15], -v[124:125]
	v_fma_f64 v[130:131], v[116:117], s[0:1], -v[126:127]
	v_fmac_f64_e32 v[126:127], s[0:1], v[116:117]
	v_add_f64 v[124:125], v[124:125], v[132:133]
	v_mul_f64 v[132:133], v[100:101], s[22:23]
	v_add_f64 v[126:127], v[126:127], v[134:135]
	v_mul_f64 v[134:135], v[102:103], s[26:27]
	v_add_f64 v[162:163], v[162:163], v[170:171]
	v_add_f64 v[164:165], v[164:165], v[172:173]
	;; [unrolled: 1-line block ×4, first 2 shown]
	v_fma_f64 v[140:141], s[0:1], v[118:119], v[132:133]
	v_fma_f64 v[132:133], v[118:119], s[0:1], -v[132:133]
	v_fma_f64 v[142:143], v[116:117], s[18:19], -v[134:135]
	v_fmac_f64_e32 v[134:135], s[18:19], v[116:117]
	v_mul_f64 v[102:103], v[102:103], s[34:35]
	v_add_f64 v[160:161], v[160:161], v[168:169]
	v_add_f64 v[166:167], v[166:167], v[174:175]
	;; [unrolled: 1-line block ×5, first 2 shown]
	v_mul_f64 v[144:145], v[100:101], s[26:27]
	v_add_f64 v[134:135], v[134:135], v[148:149]
	v_fma_f64 v[148:149], v[116:117], s[12:13], -v[102:103]
	v_mul_f64 v[100:101], v[100:101], s[34:35]
	v_add_f64 v[162:163], v[94:95], -v[98:99]
	v_add_f64 v[152:153], v[152:153], v[160:161]
	v_add_f64 v[158:159], v[158:159], v[166:167]
	;; [unrolled: 1-line block ×4, first 2 shown]
	v_fma_f64 v[150:151], s[12:13], v[118:119], v[100:101]
	v_add_f64 v[156:157], v[92:93], v[96:97]
	v_add_f64 v[160:161], v[92:93], -v[96:97]
	v_mul_f64 v[92:93], v[162:163], s[26:27]
	v_add_f64 v[140:141], v[140:141], v[146:147]
	v_fma_f64 v[146:147], s[18:19], v[118:119], v[144:145]
	v_add_f64 v[150:151], v[150:151], v[158:159]
	v_fma_f64 v[100:101], v[118:119], s[12:13], -v[100:101]
	v_add_f64 v[158:159], v[94:95], v[98:99]
	v_fma_f64 v[94:95], v[156:157], s[18:19], -v[92:93]
	v_add_f64 v[146:147], v[146:147], v[154:155]
	v_add_f64 v[154:155], v[100:101], v[108:109]
	;; [unrolled: 1-line block ×3, first 2 shown]
	v_mul_f64 v[94:95], v[160:161], s[26:27]
	v_fma_f64 v[144:145], v[118:119], s[18:19], -v[144:145]
	v_fmac_f64_e32 v[102:103], s[12:13], v[116:117]
	v_fma_f64 v[96:97], s[18:19], v[158:159], v[94:95]
	v_add_f64 v[144:145], v[144:145], v[152:153]
	v_add_f64 v[152:153], v[102:103], v[110:111]
	;; [unrolled: 1-line block ×3, first 2 shown]
	v_mul_f64 v[96:97], v[162:163], s[28:29]
	v_fma_f64 v[98:99], v[156:157], s[0:1], -v[96:97]
	v_fmac_f64_e32 v[92:93], s[18:19], v[156:157]
	v_add_f64 v[108:109], v[98:99], v[122:123]
	v_mul_f64 v[98:99], v[160:161], s[28:29]
	v_add_f64 v[92:93], v[92:93], v[104:105]
	v_fma_f64 v[104:105], s[0:1], v[158:159], v[98:99]
	v_add_f64 v[110:111], v[104:105], v[128:129]
	v_mul_f64 v[104:105], v[162:163], s[24:25]
	v_fma_f64 v[94:95], v[158:159], s[18:19], -v[94:95]
	v_fma_f64 v[106:107], v[156:157], s[16:17], -v[104:105]
	v_add_f64 v[94:95], v[94:95], v[112:113]
	v_fmac_f64_e32 v[96:97], s[0:1], v[156:157]
	v_fma_f64 v[98:99], v[158:159], s[0:1], -v[98:99]
	v_add_f64 v[112:113], v[106:107], v[130:131]
	v_mul_f64 v[106:107], v[160:161], s[24:25]
	v_mul_f64 v[128:129], v[162:163], s[20:21]
	v_add_f64 v[96:97], v[96:97], v[114:115]
	v_add_f64 v[98:99], v[98:99], v[124:125]
	v_fma_f64 v[114:115], s[16:17], v[158:159], v[106:107]
	v_fma_f64 v[106:107], v[158:159], s[16:17], -v[106:107]
	v_mul_f64 v[116:117], v[162:163], s[34:35]
	v_fma_f64 v[124:125], v[156:157], s[14:15], -v[128:129]
	v_mul_f64 v[130:131], v[160:161], s[20:21]
	v_fmac_f64_e32 v[128:129], s[14:15], v[156:157]
	v_add_f64 v[106:107], v[106:107], v[132:133]
	v_fma_f64 v[118:119], v[156:157], s[12:13], -v[116:117]
	v_fmac_f64_e32 v[116:117], s[12:13], v[156:157]
	v_add_f64 v[132:133], v[128:129], v[152:153]
	v_fma_f64 v[128:129], v[158:159], s[14:15], -v[130:131]
	v_fmac_f64_e32 v[104:105], s[16:17], v[156:157]
	v_add_f64 v[116:117], v[116:117], v[134:135]
	v_add_f64 v[134:135], v[128:129], v[154:155]
	;; [unrolled: 1-line block ×4, first 2 shown]
	v_fma_f64 v[126:127], s[14:15], v[158:159], v[130:131]
	v_add_f64 v[130:131], v[74:75], v[86:87]
	v_add_f64 v[128:129], v[128:129], v[76:77]
	;; [unrolled: 1-line block ×15, first 2 shown]
	v_mul_f64 v[118:119], v[160:161], s[34:35]
	v_add_f64 v[130:131], v[130:131], v[70:71]
	v_add_f64 v[128:129], v[128:129], v[80:81]
	;; [unrolled: 1-line block ×3, first 2 shown]
	v_add_f64 v[86:87], v[86:87], -v[90:91]
	v_add_f64 v[114:115], v[114:115], v[140:141]
	v_fma_f64 v[122:123], s[12:13], v[158:159], v[118:119]
	v_fma_f64 v[118:119], v[158:159], s[12:13], -v[118:119]
	v_add_f64 v[124:125], v[124:125], v[148:149]
	v_add_f64 v[130:131], v[130:131], v[82:83]
	;; [unrolled: 1-line block ×4, first 2 shown]
	v_add_f64 v[84:85], v[84:85], -v[88:89]
	v_mul_f64 v[88:89], v[86:87], s[22:23]
	v_mul_f64 v[148:149], v[86:87], s[30:31]
	;; [unrolled: 1-line block ×5, first 2 shown]
	v_add_f64 v[118:119], v[118:119], v[144:145]
	v_add_f64 v[126:127], v[126:127], v[150:151]
	;; [unrolled: 1-line block ×3, first 2 shown]
	v_fma_f64 v[90:91], v[140:141], s[0:1], -v[88:89]
	v_mul_f64 v[144:145], v[84:85], s[22:23]
	v_fmac_f64_e32 v[88:89], s[0:1], v[140:141]
	v_fma_f64 v[150:151], v[140:141], s[12:13], -v[148:149]
	v_mul_f64 v[152:153], v[84:85], s[30:31]
	v_fmac_f64_e32 v[148:149], s[12:13], v[140:141]
	;; [unrolled: 3-line block ×5, first 2 shown]
	v_add_f64 v[122:123], v[122:123], v[146:147]
	v_add_f64 v[90:91], v[72:73], v[90:91]
	v_fma_f64 v[146:147], s[0:1], v[142:143], v[144:145]
	v_add_f64 v[88:89], v[72:73], v[88:89]
	v_fma_f64 v[144:145], v[142:143], s[0:1], -v[144:145]
	v_add_f64 v[150:151], v[72:73], v[150:151]
	v_fma_f64 v[154:155], s[12:13], v[142:143], v[152:153]
	v_add_f64 v[148:149], v[72:73], v[148:149]
	v_fma_f64 v[152:153], v[142:143], s[12:13], -v[152:153]
	;; [unrolled: 4-line block ×5, first 2 shown]
	v_add_f64 v[86:87], v[78:79], v[82:83]
	v_add_f64 v[78:79], v[78:79], -v[82:83]
	v_add_f64 v[146:147], v[74:75], v[146:147]
	v_add_f64 v[144:145], v[74:75], v[144:145]
	;; [unrolled: 1-line block ×11, first 2 shown]
	v_add_f64 v[76:77], v[76:77], -v[80:81]
	v_mul_f64 v[80:81], v[78:79], s[30:31]
	v_fma_f64 v[82:83], v[84:85], s[12:13], -v[80:81]
	v_add_f64 v[82:83], v[82:83], v[90:91]
	v_mul_f64 v[90:91], v[76:77], s[30:31]
	v_fmac_f64_e32 v[80:81], s[12:13], v[84:85]
	v_fma_f64 v[140:141], s[12:13], v[86:87], v[90:91]
	v_add_f64 v[80:81], v[80:81], v[88:89]
	v_fma_f64 v[88:89], v[86:87], s[12:13], -v[90:91]
	v_mul_f64 v[90:91], v[78:79], s[24:25]
	v_fma_f64 v[142:143], v[84:85], s[16:17], -v[90:91]
	v_fmac_f64_e32 v[90:91], s[16:17], v[84:85]
	v_add_f64 v[88:89], v[88:89], v[144:145]
	v_mul_f64 v[144:145], v[76:77], s[24:25]
	v_add_f64 v[90:91], v[90:91], v[148:149]
	v_mul_f64 v[148:149], v[78:79], s[38:39]
	v_add_f64 v[140:141], v[140:141], v[146:147]
	v_add_f64 v[142:143], v[142:143], v[150:151]
	v_fma_f64 v[146:147], s[16:17], v[86:87], v[144:145]
	v_fma_f64 v[144:145], v[86:87], s[16:17], -v[144:145]
	v_fma_f64 v[150:151], v[84:85], s[18:19], -v[148:149]
	v_fmac_f64_e32 v[148:149], s[18:19], v[84:85]
	v_add_f64 v[144:145], v[144:145], v[152:153]
	v_mul_f64 v[152:153], v[76:77], s[38:39]
	v_add_f64 v[148:149], v[148:149], v[156:157]
	v_mul_f64 v[156:157], v[78:79], s[36:37]
	v_add_f64 v[146:147], v[146:147], v[154:155]
	v_add_f64 v[150:151], v[150:151], v[158:159]
	v_fma_f64 v[154:155], s[18:19], v[86:87], v[152:153]
	v_fma_f64 v[152:153], v[86:87], s[18:19], -v[152:153]
	v_fma_f64 v[158:159], v[84:85], s[14:15], -v[156:157]
	v_fmac_f64_e32 v[156:157], s[14:15], v[84:85]
	v_mul_f64 v[78:79], v[78:79], s[28:29]
	v_add_f64 v[152:153], v[152:153], v[160:161]
	v_mul_f64 v[160:161], v[76:77], s[36:37]
	v_add_f64 v[156:157], v[156:157], v[164:165]
	v_fma_f64 v[164:165], v[84:85], s[0:1], -v[78:79]
	v_mul_f64 v[76:77], v[76:77], s[28:29]
	v_fmac_f64_e32 v[78:79], s[0:1], v[84:85]
	v_add_f64 v[158:159], v[158:159], v[166:167]
	v_fma_f64 v[166:167], s[0:1], v[86:87], v[76:77]
	v_add_f64 v[72:73], v[78:79], v[72:73]
	v_fma_f64 v[76:77], v[86:87], s[0:1], -v[76:77]
	v_add_f64 v[78:79], v[66:67], v[70:71]
	v_add_f64 v[66:67], v[66:67], -v[70:71]
	v_add_f64 v[74:75], v[76:77], v[74:75]
	v_add_f64 v[76:77], v[64:65], v[68:69]
	v_add_f64 v[64:65], v[64:65], -v[68:69]
	v_mul_f64 v[68:69], v[66:67], s[20:21]
	v_fma_f64 v[70:71], v[76:77], s[14:15], -v[68:69]
	v_add_f64 v[70:71], v[70:71], v[82:83]
	v_mul_f64 v[82:83], v[64:65], s[20:21]
	v_fmac_f64_e32 v[68:69], s[14:15], v[76:77]
	v_fma_f64 v[84:85], s[14:15], v[78:79], v[82:83]
	v_add_f64 v[68:69], v[68:69], v[80:81]
	v_fma_f64 v[80:81], v[78:79], s[14:15], -v[82:83]
	v_mul_f64 v[82:83], v[66:67], s[38:39]
	v_add_f64 v[154:155], v[154:155], v[162:163]
	v_fma_f64 v[162:163], s[14:15], v[86:87], v[160:161]
	v_fma_f64 v[160:161], v[86:87], s[14:15], -v[160:161]
	v_add_f64 v[80:81], v[80:81], v[88:89]
	v_fma_f64 v[86:87], v[76:77], s[18:19], -v[82:83]
	v_mul_f64 v[88:89], v[64:65], s[38:39]
	v_fmac_f64_e32 v[82:83], s[18:19], v[76:77]
	v_add_f64 v[84:85], v[84:85], v[140:141]
	v_fma_f64 v[140:141], s[18:19], v[78:79], v[88:89]
	v_add_f64 v[82:83], v[82:83], v[90:91]
	v_fma_f64 v[88:89], v[78:79], s[18:19], -v[88:89]
	v_mul_f64 v[90:91], v[66:67], s[34:35]
	v_add_f64 v[86:87], v[86:87], v[142:143]
	v_add_f64 v[88:89], v[88:89], v[144:145]
	v_fma_f64 v[142:143], v[76:77], s[12:13], -v[90:91]
	v_mul_f64 v[144:145], v[64:65], s[34:35]
	v_fmac_f64_e32 v[90:91], s[12:13], v[76:77]
	v_add_f64 v[140:141], v[140:141], v[146:147]
	v_fma_f64 v[146:147], s[12:13], v[78:79], v[144:145]
	v_add_f64 v[90:91], v[90:91], v[148:149]
	v_fma_f64 v[144:145], v[78:79], s[12:13], -v[144:145]
	v_mul_f64 v[148:149], v[66:67], s[22:23]
	v_add_f64 v[142:143], v[142:143], v[150:151]
	v_add_f64 v[144:145], v[144:145], v[152:153]
	v_fma_f64 v[150:151], v[76:77], s[0:1], -v[148:149]
	v_mul_f64 v[152:153], v[64:65], s[22:23]
	v_mul_f64 v[64:65], v[64:65], s[24:25]
	v_add_f64 v[150:151], v[150:151], v[158:159]
	v_fmac_f64_e32 v[148:149], s[0:1], v[76:77]
	v_mul_f64 v[66:67], v[66:67], s[24:25]
	v_fma_f64 v[158:159], s[16:17], v[78:79], v[64:65]
	v_fma_f64 v[64:65], v[78:79], s[16:17], -v[64:65]
	v_add_f64 v[148:149], v[148:149], v[156:157]
	v_fma_f64 v[156:157], v[76:77], s[16:17], -v[66:67]
	v_fmac_f64_e32 v[66:67], s[16:17], v[76:77]
	v_add_f64 v[64:65], v[64:65], v[74:75]
	v_add_f64 v[74:75], v[58:59], v[62:63]
	v_add_f64 v[58:59], v[58:59], -v[62:63]
	v_add_f64 v[66:67], v[66:67], v[72:73]
	v_add_f64 v[72:73], v[56:57], v[60:61]
	v_add_f64 v[56:57], v[56:57], -v[60:61]
	v_mul_f64 v[60:61], v[58:59], s[24:25]
	v_fma_f64 v[62:63], v[72:73], s[16:17], -v[60:61]
	v_add_f64 v[62:63], v[62:63], v[70:71]
	v_mul_f64 v[70:71], v[56:57], s[24:25]
	v_fmac_f64_e32 v[60:61], s[16:17], v[72:73]
	v_fma_f64 v[76:77], s[16:17], v[74:75], v[70:71]
	v_add_f64 v[60:61], v[60:61], v[68:69]
	v_fma_f64 v[68:69], v[74:75], s[16:17], -v[70:71]
	v_mul_f64 v[70:71], v[58:59], s[36:37]
	v_add_f64 v[146:147], v[146:147], v[154:155]
	v_fma_f64 v[154:155], s[0:1], v[78:79], v[152:153]
	v_fma_f64 v[152:153], v[78:79], s[0:1], -v[152:153]
	v_fma_f64 v[78:79], v[72:73], s[14:15], -v[70:71]
	v_fmac_f64_e32 v[70:71], s[14:15], v[72:73]
	v_add_f64 v[68:69], v[68:69], v[80:81]
	v_mul_f64 v[80:81], v[56:57], s[36:37]
	v_add_f64 v[70:71], v[70:71], v[82:83]
	v_mul_f64 v[82:83], v[58:59], s[22:23]
	v_add_f64 v[76:77], v[76:77], v[84:85]
	v_add_f64 v[78:79], v[78:79], v[86:87]
	v_fma_f64 v[84:85], s[14:15], v[74:75], v[80:81]
	v_fma_f64 v[80:81], v[74:75], s[14:15], -v[80:81]
	v_fma_f64 v[86:87], v[72:73], s[0:1], -v[82:83]
	v_fmac_f64_e32 v[82:83], s[0:1], v[72:73]
	v_add_f64 v[80:81], v[80:81], v[88:89]
	v_mul_f64 v[88:89], v[56:57], s[22:23]
	v_add_f64 v[82:83], v[82:83], v[90:91]
	v_mul_f64 v[90:91], v[58:59], s[26:27]
	v_add_f64 v[162:163], v[162:163], v[170:171]
	v_add_f64 v[164:165], v[164:165], v[172:173]
	;; [unrolled: 1-line block ×4, first 2 shown]
	v_fma_f64 v[140:141], s[0:1], v[74:75], v[88:89]
	v_fma_f64 v[88:89], v[74:75], s[0:1], -v[88:89]
	v_fma_f64 v[142:143], v[72:73], s[18:19], -v[90:91]
	v_fmac_f64_e32 v[90:91], s[18:19], v[72:73]
	v_mul_f64 v[58:59], v[58:59], s[34:35]
	v_add_f64 v[160:161], v[160:161], v[168:169]
	v_add_f64 v[166:167], v[166:167], v[174:175]
	;; [unrolled: 1-line block ×5, first 2 shown]
	v_mul_f64 v[144:145], v[56:57], s[26:27]
	v_add_f64 v[90:91], v[90:91], v[148:149]
	v_fma_f64 v[148:149], v[72:73], s[12:13], -v[58:59]
	v_mul_f64 v[56:57], v[56:57], s[34:35]
	v_add_f64 v[162:163], v[46:47], -v[50:51]
	v_add_f64 v[152:153], v[152:153], v[160:161]
	v_add_f64 v[158:159], v[158:159], v[166:167]
	;; [unrolled: 1-line block ×4, first 2 shown]
	v_fma_f64 v[150:151], s[12:13], v[74:75], v[56:57]
	v_add_f64 v[156:157], v[44:45], v[48:49]
	v_add_f64 v[160:161], v[44:45], -v[48:49]
	v_mul_f64 v[44:45], v[162:163], s[26:27]
	v_add_f64 v[140:141], v[140:141], v[146:147]
	v_fma_f64 v[146:147], s[18:19], v[74:75], v[144:145]
	v_add_f64 v[150:151], v[150:151], v[158:159]
	v_fma_f64 v[56:57], v[74:75], s[12:13], -v[56:57]
	v_add_f64 v[158:159], v[46:47], v[50:51]
	v_fma_f64 v[46:47], v[156:157], s[18:19], -v[44:45]
	v_add_f64 v[146:147], v[146:147], v[154:155]
	v_add_f64 v[154:155], v[56:57], v[64:65]
	;; [unrolled: 1-line block ×3, first 2 shown]
	v_mul_f64 v[46:47], v[160:161], s[26:27]
	v_fma_f64 v[144:145], v[74:75], s[18:19], -v[144:145]
	v_fmac_f64_e32 v[58:59], s[12:13], v[72:73]
	v_fma_f64 v[48:49], s[18:19], v[158:159], v[46:47]
	v_add_f64 v[144:145], v[144:145], v[152:153]
	v_add_f64 v[152:153], v[58:59], v[66:67]
	;; [unrolled: 1-line block ×3, first 2 shown]
	v_mul_f64 v[48:49], v[162:163], s[28:29]
	v_fma_f64 v[50:51], v[156:157], s[0:1], -v[48:49]
	v_fmac_f64_e32 v[44:45], s[18:19], v[156:157]
	v_add_f64 v[64:65], v[50:51], v[78:79]
	v_mul_f64 v[50:51], v[160:161], s[28:29]
	v_add_f64 v[44:45], v[44:45], v[60:61]
	v_fma_f64 v[60:61], s[0:1], v[158:159], v[50:51]
	v_add_f64 v[66:67], v[60:61], v[84:85]
	v_mul_f64 v[60:61], v[162:163], s[24:25]
	v_fma_f64 v[46:47], v[158:159], s[18:19], -v[46:47]
	v_fma_f64 v[62:63], v[156:157], s[16:17], -v[60:61]
	v_mul_f64 v[72:73], v[162:163], s[34:35]
	v_add_f64 v[46:47], v[46:47], v[68:69]
	v_add_f64 v[68:69], v[62:63], v[86:87]
	v_fmac_f64_e32 v[60:61], s[16:17], v[156:157]
	v_fma_f64 v[74:75], v[156:157], s[12:13], -v[72:73]
	v_mul_f64 v[86:87], v[160:161], s[20:21]
	v_fmac_f64_e32 v[48:49], s[0:1], v[156:157]
	v_mul_f64 v[62:63], v[160:161], s[24:25]
	v_add_f64 v[60:61], v[60:61], v[82:83]
	v_add_f64 v[76:77], v[74:75], v[142:143]
	v_mul_f64 v[74:75], v[160:161], s[34:35]
	v_fma_f64 v[82:83], s[14:15], v[158:159], v[86:87]
	v_add_f64 v[48:49], v[48:49], v[70:71]
	v_fma_f64 v[50:51], v[158:159], s[0:1], -v[50:51]
	v_fma_f64 v[70:71], s[16:17], v[158:159], v[62:63]
	v_fma_f64 v[62:63], v[158:159], s[16:17], -v[62:63]
	v_fma_f64 v[78:79], s[12:13], v[158:159], v[74:75]
	v_fma_f64 v[74:75], v[158:159], s[12:13], -v[74:75]
	v_mul_f64 v[84:85], v[162:163], s[20:21]
	v_add_f64 v[82:83], v[82:83], v[150:151]
	v_add_f64 v[150:151], v[6:7], -v[42:43]
	v_add_f64 v[50:51], v[50:51], v[80:81]
	v_add_f64 v[62:63], v[62:63], v[88:89]
	;; [unrolled: 1-line block ×3, first 2 shown]
	v_fmac_f64_e32 v[72:73], s[12:13], v[156:157]
	v_add_f64 v[74:75], v[74:75], v[144:145]
	v_fma_f64 v[80:81], v[156:157], s[14:15], -v[84:85]
	v_add_f64 v[146:147], v[4:5], v[40:41]
	v_add_f64 v[144:145], v[4:5], -v[40:41]
	v_mul_f64 v[88:89], v[150:151], s[22:23]
	v_add_f64 v[70:71], v[70:71], v[140:141]
	v_add_f64 v[72:73], v[72:73], v[90:91]
	;; [unrolled: 1-line block ×3, first 2 shown]
	v_fmac_f64_e32 v[84:85], s[14:15], v[156:157]
	v_add_f64 v[148:149], v[6:7], v[42:43]
	v_mul_f64 v[90:91], v[144:145], s[22:23]
	v_fma_f64 v[140:141], s[0:1], v[146:147], v[88:89]
	v_add_f64 v[84:85], v[84:85], v[152:153]
	v_fma_f64 v[86:87], v[158:159], s[14:15], -v[86:87]
	v_add_f64 v[152:153], v[0:1], v[140:141]
	v_fma_f64 v[140:141], v[148:149], s[0:1], -v[90:91]
	v_add_f64 v[86:87], v[86:87], v[154:155]
	v_add_f64 v[154:155], v[2:3], v[140:141]
	v_mul_f64 v[140:141], v[150:151], s[30:31]
	v_mul_f64 v[142:143], v[144:145], s[30:31]
	v_fma_f64 v[156:157], s[12:13], v[146:147], v[140:141]
	v_add_f64 v[160:161], v[0:1], v[156:157]
	v_fma_f64 v[156:157], v[148:149], s[12:13], -v[142:143]
	v_add_f64 v[162:163], v[2:3], v[156:157]
	v_mul_f64 v[156:157], v[150:151], s[20:21]
	v_fma_f64 v[158:159], v[146:147], s[14:15], -v[156:157]
	v_add_f64 v[164:165], v[0:1], v[158:159]
	v_mul_f64 v[158:159], v[144:145], s[20:21]
	v_fmac_f64_e32 v[156:157], s[14:15], v[146:147]
	v_add_f64 v[168:169], v[0:1], v[156:157]
	v_fma_f64 v[156:157], v[148:149], s[14:15], -v[158:159]
	v_add_f64 v[170:171], v[2:3], v[156:157]
	v_mul_f64 v[156:157], v[150:151], s[24:25]
	v_fma_f64 v[166:167], s[14:15], v[148:149], v[158:159]
	v_fma_f64 v[158:159], v[146:147], s[16:17], -v[156:157]
	v_add_f64 v[172:173], v[0:1], v[158:159]
	v_mul_f64 v[158:159], v[144:145], s[24:25]
	v_fmac_f64_e32 v[156:157], s[16:17], v[146:147]
	v_add_f64 v[176:177], v[0:1], v[156:157]
	v_fma_f64 v[156:157], v[148:149], s[16:17], -v[158:159]
	v_mul_f64 v[150:151], v[150:151], s[26:27]
	v_add_f64 v[178:179], v[2:3], v[156:157]
	v_fma_f64 v[156:157], v[146:147], s[18:19], -v[150:151]
	v_mul_f64 v[144:145], v[144:145], s[26:27]
	v_add_f64 v[180:181], v[0:1], v[156:157]
	v_fma_f64 v[156:157], s[18:19], v[148:149], v[144:145]
	v_fma_f64 v[144:145], v[148:149], s[18:19], -v[144:145]
	v_add_f64 v[190:191], v[10:11], -v[38:39]
	v_add_f64 v[182:183], v[2:3], v[156:157]
	v_fmac_f64_e32 v[150:151], s[18:19], v[146:147]
	v_add_f64 v[186:187], v[2:3], v[144:145]
	v_add_f64 v[156:157], v[8:9], v[36:37]
	v_add_f64 v[188:189], v[8:9], -v[36:37]
	v_mul_f64 v[144:145], v[190:191], s[30:31]
	v_fma_f64 v[174:175], s[16:17], v[148:149], v[158:159]
	v_add_f64 v[184:185], v[0:1], v[150:151]
	v_add_f64 v[158:159], v[10:11], v[38:39]
	v_mul_f64 v[150:151], v[188:189], s[30:31]
	v_fma_f64 v[192:193], s[12:13], v[156:157], v[144:145]
	v_add_f64 v[192:193], v[192:193], v[152:153]
	v_fma_f64 v[152:153], v[158:159], s[12:13], -v[150:151]
	v_add_f64 v[194:195], v[152:153], v[154:155]
	v_mul_f64 v[152:153], v[190:191], s[24:25]
	v_mul_f64 v[154:155], v[188:189], s[24:25]
	v_fma_f64 v[196:197], s[16:17], v[156:157], v[152:153]
	v_add_f64 v[196:197], v[196:197], v[160:161]
	v_fma_f64 v[160:161], v[158:159], s[16:17], -v[154:155]
	v_add_f64 v[198:199], v[160:161], v[162:163]
	v_mul_f64 v[160:161], v[190:191], s[38:39]
	v_fma_f64 v[162:163], v[156:157], s[18:19], -v[160:161]
	v_add_f64 v[200:201], v[162:163], v[164:165]
	v_mul_f64 v[162:163], v[188:189], s[38:39]
	v_fmac_f64_e32 v[160:161], s[18:19], v[156:157]
	v_add_f64 v[204:205], v[160:161], v[168:169]
	v_fma_f64 v[160:161], v[158:159], s[18:19], -v[162:163]
	v_add_f64 v[206:207], v[160:161], v[170:171]
	v_mul_f64 v[160:161], v[190:191], s[36:37]
	v_fma_f64 v[164:165], s[18:19], v[158:159], v[162:163]
	v_fma_f64 v[162:163], v[156:157], s[14:15], -v[160:161]
	v_add_f64 v[172:173], v[162:163], v[172:173]
	v_mul_f64 v[162:163], v[188:189], s[36:37]
	v_fmac_f64_e32 v[160:161], s[14:15], v[156:157]
	v_add_f64 v[176:177], v[160:161], v[176:177]
	v_fma_f64 v[160:161], v[158:159], s[14:15], -v[162:163]
	v_add_f64 v[166:167], v[2:3], v[166:167]
	v_add_f64 v[178:179], v[160:161], v[178:179]
	v_mul_f64 v[160:161], v[190:191], s[28:29]
	v_add_f64 v[202:203], v[164:165], v[166:167]
	v_fma_f64 v[164:165], s[14:15], v[158:159], v[162:163]
	v_fma_f64 v[162:163], v[156:157], s[0:1], -v[160:161]
	v_add_f64 v[180:181], v[162:163], v[180:181]
	v_mul_f64 v[162:163], v[188:189], s[28:29]
	v_fmac_f64_e32 v[160:161], s[0:1], v[156:157]
	v_add_f64 v[174:175], v[2:3], v[174:175]
	v_add_f64 v[184:185], v[160:161], v[184:185]
	v_fma_f64 v[160:161], v[158:159], s[0:1], -v[162:163]
	v_add_f64 v[190:191], v[14:15], -v[34:35]
	v_add_f64 v[174:175], v[164:165], v[174:175]
	v_fma_f64 v[164:165], s[0:1], v[158:159], v[162:163]
	v_add_f64 v[186:187], v[160:161], v[186:187]
	v_add_f64 v[168:169], v[12:13], v[32:33]
	v_add_f64 v[188:189], v[12:13], -v[32:33]
	v_mul_f64 v[160:161], v[190:191], s[20:21]
	v_add_f64 v[182:183], v[164:165], v[182:183]
	v_add_f64 v[170:171], v[14:15], v[34:35]
	v_mul_f64 v[162:163], v[188:189], s[20:21]
	v_fma_f64 v[164:165], s[14:15], v[168:169], v[160:161]
	v_add_f64 v[192:193], v[164:165], v[192:193]
	v_fma_f64 v[164:165], v[170:171], s[14:15], -v[162:163]
	v_add_f64 v[194:195], v[164:165], v[194:195]
	v_mul_f64 v[164:165], v[190:191], s[38:39]
	v_mul_f64 v[166:167], v[188:189], s[38:39]
	v_fma_f64 v[212:213], s[18:19], v[168:169], v[164:165]
	v_add_f64 v[196:197], v[212:213], v[196:197]
	v_fma_f64 v[212:213], v[170:171], s[18:19], -v[166:167]
	v_add_f64 v[198:199], v[212:213], v[198:199]
	v_mul_f64 v[212:213], v[190:191], s[34:35]
	v_fma_f64 v[214:215], v[168:169], s[12:13], -v[212:213]
	v_add_f64 v[200:201], v[214:215], v[200:201]
	v_mul_f64 v[214:215], v[188:189], s[34:35]
	v_fmac_f64_e32 v[212:213], s[12:13], v[168:169]
	v_add_f64 v[204:205], v[212:213], v[204:205]
	v_fma_f64 v[212:213], v[170:171], s[12:13], -v[214:215]
	v_add_f64 v[206:207], v[212:213], v[206:207]
	v_mul_f64 v[212:213], v[190:191], s[22:23]
	v_fma_f64 v[216:217], s[12:13], v[170:171], v[214:215]
	v_fma_f64 v[214:215], v[168:169], s[0:1], -v[212:213]
	v_add_f64 v[214:215], v[214:215], v[172:173]
	v_mul_f64 v[172:173], v[188:189], s[22:23]
	v_add_f64 v[202:203], v[216:217], v[202:203]
	v_fma_f64 v[216:217], s[0:1], v[170:171], v[172:173]
	v_fma_f64 v[172:173], v[170:171], s[0:1], -v[172:173]
	v_add_f64 v[218:219], v[172:173], v[178:179]
	v_mul_f64 v[172:173], v[190:191], s[24:25]
	v_add_f64 v[216:217], v[216:217], v[174:175]
	v_fma_f64 v[174:175], v[168:169], s[16:17], -v[172:173]
	v_add_f64 v[190:191], v[174:175], v[180:181]
	v_mul_f64 v[174:175], v[188:189], s[24:25]
	v_fmac_f64_e32 v[172:173], s[16:17], v[168:169]
	v_fmac_f64_e32 v[212:213], s[0:1], v[168:169]
	v_add_f64 v[184:185], v[172:173], v[184:185]
	v_fma_f64 v[172:173], v[170:171], s[16:17], -v[174:175]
	v_add_f64 v[222:223], v[18:19], -v[30:31]
	v_add_f64 v[212:213], v[212:213], v[176:177]
	v_fma_f64 v[176:177], s[16:17], v[170:171], v[174:175]
	v_add_f64 v[186:187], v[172:173], v[186:187]
	v_add_f64 v[178:179], v[16:17], v[28:29]
	v_add_f64 v[220:221], v[16:17], -v[28:29]
	v_mul_f64 v[172:173], v[222:223], s[24:25]
	v_add_f64 v[188:189], v[176:177], v[182:183]
	v_add_f64 v[180:181], v[18:19], v[30:31]
	v_mul_f64 v[174:175], v[220:221], s[24:25]
	v_fma_f64 v[176:177], s[16:17], v[178:179], v[172:173]
	v_add_f64 v[224:225], v[176:177], v[192:193]
	v_fma_f64 v[176:177], v[180:181], s[16:17], -v[174:175]
	v_add_f64 v[194:195], v[176:177], v[194:195]
	v_mul_f64 v[176:177], v[222:223], s[36:37]
	v_mul_f64 v[182:183], v[220:221], s[36:37]
	v_fma_f64 v[192:193], s[14:15], v[178:179], v[176:177]
	v_add_f64 v[196:197], v[192:193], v[196:197]
	v_fma_f64 v[192:193], v[180:181], s[14:15], -v[182:183]
	v_add_f64 v[198:199], v[192:193], v[198:199]
	v_mul_f64 v[192:193], v[222:223], s[22:23]
	v_fma_f64 v[226:227], v[178:179], s[0:1], -v[192:193]
	v_add_f64 v[200:201], v[226:227], v[200:201]
	v_mul_f64 v[226:227], v[220:221], s[22:23]
	v_fmac_f64_e32 v[192:193], s[0:1], v[178:179]
	v_add_f64 v[204:205], v[192:193], v[204:205]
	v_fma_f64 v[192:193], v[180:181], s[0:1], -v[226:227]
	v_add_f64 v[206:207], v[192:193], v[206:207]
	v_mul_f64 v[192:193], v[222:223], s[26:27]
	v_fma_f64 v[228:229], s[0:1], v[180:181], v[226:227]
	v_fma_f64 v[226:227], v[178:179], s[18:19], -v[192:193]
	v_add_f64 v[214:215], v[226:227], v[214:215]
	v_mul_f64 v[226:227], v[220:221], s[26:27]
	v_fmac_f64_e32 v[192:193], s[18:19], v[178:179]
	v_add_f64 v[212:213], v[192:193], v[212:213]
	v_fma_f64 v[192:193], v[180:181], s[18:19], -v[226:227]
	v_add_f64 v[218:219], v[192:193], v[218:219]
	v_mul_f64 v[192:193], v[222:223], s[34:35]
	v_fma_f64 v[222:223], v[178:179], s[12:13], -v[192:193]
	v_add_f64 v[222:223], v[222:223], v[190:191]
	v_mul_f64 v[190:191], v[220:221], s[34:35]
	v_fmac_f64_e32 v[192:193], s[12:13], v[178:179]
	v_add_f64 v[202:203], v[228:229], v[202:203]
	v_fma_f64 v[228:229], s[18:19], v[180:181], v[226:227]
	v_add_f64 v[226:227], v[192:193], v[184:185]
	v_fma_f64 v[184:185], v[180:181], s[12:13], -v[190:191]
	v_add_f64 v[232:233], v[22:23], -v[26:27]
	v_add_f64 v[216:217], v[228:229], v[216:217]
	v_fma_f64 v[220:221], s[12:13], v[180:181], v[190:191]
	v_add_f64 v[228:229], v[184:185], v[186:187]
	v_add_f64 v[190:191], v[20:21], v[24:25]
	v_add_f64 v[230:231], v[20:21], -v[24:25]
	v_mul_f64 v[184:185], v[232:233], s[26:27]
	v_add_f64 v[220:221], v[220:221], v[188:189]
	v_add_f64 v[192:193], v[22:23], v[26:27]
	v_mul_f64 v[186:187], v[230:231], s[26:27]
	v_fma_f64 v[188:189], s[18:19], v[190:191], v[184:185]
	v_add_f64 v[234:235], v[188:189], v[224:225]
	v_fma_f64 v[188:189], v[192:193], s[18:19], -v[186:187]
	v_add_f64 v[236:237], v[188:189], v[194:195]
	v_mul_f64 v[188:189], v[232:233], s[28:29]
	v_accvgpr_write_b32 a118, v234
	v_mul_f64 v[194:195], v[230:231], s[28:29]
	v_fma_f64 v[224:225], s[0:1], v[190:191], v[188:189]
	v_accvgpr_write_b32 a119, v235
	v_accvgpr_write_b32 a120, v236
	;; [unrolled: 1-line block ×3, first 2 shown]
	v_add_f64 v[234:235], v[224:225], v[196:197]
	v_fma_f64 v[196:197], v[192:193], s[0:1], -v[194:195]
	v_add_f64 v[236:237], v[196:197], v[198:199]
	v_mul_f64 v[196:197], v[232:233], s[24:25]
	v_accvgpr_write_b32 a102, v234
	v_fma_f64 v[198:199], v[190:191], s[16:17], -v[196:197]
	v_accvgpr_write_b32 a103, v235
	v_accvgpr_write_b32 a104, v236
	;; [unrolled: 1-line block ×3, first 2 shown]
	v_add_f64 v[234:235], v[198:199], v[200:201]
	v_mul_f64 v[198:199], v[230:231], s[24:25]
	v_fma_f64 v[200:201], s[16:17], v[192:193], v[198:199]
	v_fmac_f64_e32 v[196:197], s[16:17], v[190:191]
	v_add_f64 v[236:237], v[200:201], v[202:203]
	v_add_f64 v[200:201], v[196:197], v[204:205]
	v_fma_f64 v[196:197], v[192:193], s[16:17], -v[198:199]
	v_add_f64 v[202:203], v[196:197], v[206:207]
	v_mul_f64 v[196:197], v[232:233], s[34:35]
	v_accvgpr_write_b32 a106, v200
	v_fma_f64 v[198:199], v[190:191], s[12:13], -v[196:197]
	v_accvgpr_write_b32 a107, v201
	v_accvgpr_write_b32 a108, v202
	;; [unrolled: 1-line block ×3, first 2 shown]
	v_add_f64 v[202:203], v[198:199], v[214:215]
	v_mul_f64 v[198:199], v[230:231], s[34:35]
	v_fma_f64 v[200:201], s[12:13], v[192:193], v[198:199]
	v_fmac_f64_e32 v[196:197], s[12:13], v[190:191]
	v_add_f64 v[204:205], v[200:201], v[216:217]
	v_accvgpr_write_b32 a94, v202
	v_add_f64 v[200:201], v[196:197], v[212:213]
	v_fma_f64 v[196:197], v[192:193], s[12:13], -v[198:199]
	v_accvgpr_write_b32 a95, v203
	v_accvgpr_write_b32 a96, v204
	v_accvgpr_write_b32 a97, v205
	v_add_f64 v[202:203], v[196:197], v[218:219]
	v_mul_f64 v[196:197], v[232:233], s[20:21]
	v_accvgpr_write_b32 a110, v200
	v_fma_f64 v[198:199], v[190:191], s[14:15], -v[196:197]
	v_mul_lo_u16_e32 v137, 11, v250
	v_lshl_add_u64 v[138:139], v[250:251], 0, 55
	v_accvgpr_write_b32 a111, v201
	v_accvgpr_write_b32 a112, v202
	;; [unrolled: 1-line block ×3, first 2 shown]
	v_add_f64 v[202:203], v[198:199], v[222:223]
	v_mul_f64 v[198:199], v[230:231], s[20:21]
	v_lshlrev_b32_e32 v218, 4, v137
	v_fma_f64 v[200:201], s[14:15], v[192:193], v[198:199]
	v_fmac_f64_e32 v[196:197], s[14:15], v[190:191]
	s_waitcnt lgkmcnt(0)
	; wave barrier
	ds_write_b128 v218, v[52:55]
	ds_write_b128 v218, v[100:103] offset:16
	ds_write_b128 v218, v[108:111] offset:32
	ds_write_b128 v218, v[112:115] offset:48
	ds_write_b128 v218, v[120:123] offset:64
	ds_write_b128 v218, v[124:127] offset:80
	ds_write_b128 v218, v[132:135] offset:96
	ds_write_b128 v218, v[116:119] offset:112
	ds_write_b128 v218, v[104:107] offset:128
	ds_write_b128 v218, v[96:99] offset:144
	ds_write_b128 v218, v[92:95] offset:160
	v_mul_u32_u24_e32 v52, 11, v138
	v_add_f64 v[204:205], v[200:201], v[220:221]
	v_accvgpr_write_b32 a98, v202
	v_add_f64 v[200:201], v[196:197], v[226:227]
	v_fma_f64 v[196:197], v[192:193], s[14:15], -v[198:199]
	v_lshlrev_b32_e32 v219, 4, v52
	v_accvgpr_write_b32 a90, v234
	v_accvgpr_write_b32 a99, v203
	;; [unrolled: 1-line block ×4, first 2 shown]
	v_add_f64 v[202:203], v[196:197], v[228:229]
	v_accvgpr_write_b32 a114, v200
	ds_write_b128 v219, v[128:131]
	ds_write_b128 v219, v[56:59] offset:16
	ds_write_b128 v219, v[64:67] offset:32
	;; [unrolled: 1-line block ×10, first 2 shown]
	v_mul_u32_u24_e32 v44, 11, v136
	v_accvgpr_write_b32 a91, v235
	v_accvgpr_write_b32 a92, v236
	;; [unrolled: 1-line block ×7, first 2 shown]
	s_and_saveexec_b64 s[20:21], vcc
	s_cbranch_execz .LBB0_7
; %bb.6:
	v_mul_f64 v[48:49], v[146:147], s[0:1]
	v_mul_f64 v[50:51], v[148:149], s[0:1]
	;; [unrolled: 1-line block ×4, first 2 shown]
	v_add_f64 v[46:47], v[142:143], v[46:47]
	v_add_f64 v[44:45], v[44:45], -v[140:141]
	v_add_f64 v[50:51], v[90:91], v[50:51]
	v_add_f64 v[48:49], v[48:49], -v[88:89]
	v_add_f64 v[46:47], v[2:3], v[46:47]
	v_add_f64 v[44:45], v[0:1], v[44:45]
	;; [unrolled: 1-line block ×6, first 2 shown]
	v_mul_f64 v[56:57], v[156:157], s[16:17]
	v_mul_f64 v[58:59], v[158:159], s[16:17]
	v_add_f64 v[2:3], v[2:3], v[10:11]
	v_add_f64 v[0:1], v[0:1], v[8:9]
	v_mul_f64 v[64:65], v[168:169], s[18:19]
	v_mul_f64 v[66:67], v[170:171], s[18:19]
	v_add_f64 v[58:59], v[154:155], v[58:59]
	v_add_f64 v[56:57], v[56:57], -v[152:153]
	v_add_f64 v[2:3], v[2:3], v[14:15]
	v_add_f64 v[0:1], v[0:1], v[12:13]
	v_mul_f64 v[54:55], v[158:159], s[12:13]
	v_mul_f64 v[72:73], v[178:179], s[14:15]
	v_add_f64 v[66:67], v[166:167], v[66:67]
	v_add_f64 v[46:47], v[58:59], v[46:47]
	v_add_f64 v[64:65], v[64:65], -v[164:165]
	v_add_f64 v[44:45], v[56:57], v[44:45]
	v_add_f64 v[2:3], v[2:3], v[18:19]
	;; [unrolled: 1-line block ×3, first 2 shown]
	v_mul_f64 v[62:63], v[170:171], s[14:15]
	v_mul_f64 v[80:81], v[190:191], s[0:1]
	v_add_f64 v[46:47], v[66:67], v[46:47]
	v_add_f64 v[66:67], v[72:73], -v[176:177]
	v_add_f64 v[44:45], v[64:65], v[44:45]
	v_add_f64 v[54:55], v[150:151], v[54:55]
	v_add_f64 v[2:3], v[2:3], v[22:23]
	v_add_f64 v[0:1], v[0:1], v[20:21]
	v_mul_f64 v[52:53], v[156:157], s[12:13]
	v_mul_f64 v[70:71], v[180:181], s[16:17]
	v_add_f64 v[58:59], v[80:81], -v[188:189]
	v_add_f64 v[44:45], v[66:67], v[44:45]
	v_add_f64 v[62:63], v[162:163], v[62:63]
	;; [unrolled: 1-line block ×5, first 2 shown]
	v_mul_f64 v[60:61], v[168:169], s[14:15]
	v_mul_f64 v[78:79], v[192:193], s[18:19]
	v_add_f64 v[44:45], v[58:59], v[44:45]
	v_add_f64 v[58:59], v[174:175], v[70:71]
	;; [unrolled: 1-line block ×3, first 2 shown]
	v_add_f64 v[52:53], v[52:53], -v[144:145]
	v_add_f64 v[2:3], v[2:3], v[30:31]
	v_add_f64 v[0:1], v[0:1], v[28:29]
	v_mul_f64 v[68:69], v[178:179], s[16:17]
	v_mul_f64 v[74:75], v[180:181], s[14:15]
	v_add_f64 v[56:57], v[186:187], v[78:79]
	v_add_f64 v[50:51], v[58:59], v[50:51]
	v_add_f64 v[58:59], v[60:61], -v[160:161]
	v_add_f64 v[48:49], v[52:53], v[48:49]
	v_add_f64 v[2:3], v[2:3], v[34:35]
	v_add_f64 v[0:1], v[0:1], v[32:33]
	v_mul_f64 v[76:77], v[190:191], s[18:19]
	v_mul_f64 v[82:83], v[192:193], s[0:1]
	v_add_f64 v[74:75], v[182:183], v[74:75]
	v_add_f64 v[50:51], v[56:57], v[50:51]
	v_add_f64 v[56:57], v[68:69], -v[172:173]
	v_add_f64 v[48:49], v[58:59], v[48:49]
	v_add_f64 v[2:3], v[2:3], v[38:39]
	;; [unrolled: 1-line block ×3, first 2 shown]
	v_accvgpr_read_b32 v4, a21
	v_add_f64 v[82:83], v[194:195], v[82:83]
	v_add_f64 v[46:47], v[74:75], v[46:47]
	v_add_f64 v[54:55], v[76:77], -v[184:185]
	v_add_f64 v[48:49], v[56:57], v[48:49]
	v_add_f64 v[2:3], v[2:3], v[42:43]
	;; [unrolled: 1-line block ×3, first 2 shown]
	v_lshlrev_b32_e32 v4, 4, v4
	v_add_f64 v[46:47], v[82:83], v[46:47]
	v_add_f64 v[48:49], v[54:55], v[48:49]
	ds_write_b128 v4, v[0:3]
	ds_write_b128 v4, v[48:51] offset:16
	ds_write_b128 v4, v[44:47] offset:32
	;; [unrolled: 1-line block ×10, first 2 shown]
.LBB0_7:
	s_or_b64 exec, exec, s[20:21]
	s_movk_i32 s0, 0x75
	v_mul_lo_u16_sdwa v8, v250, s0 dst_sel:DWORD dst_unused:UNUSED_PAD src0_sel:BYTE_0 src1_sel:DWORD
	v_sub_u16_sdwa v9, v250, v8 dst_sel:DWORD dst_unused:UNUSED_PAD src0_sel:DWORD src1_sel:BYTE_1
	v_lshrrev_b16_e32 v9, 1, v9
	v_and_b32_e32 v9, 0x7f, v9
	v_add_u16_sdwa v8, v9, v8 dst_sel:DWORD dst_unused:UNUSED_PAD src0_sel:DWORD src1_sel:BYTE_1
	v_lshrrev_b16_e32 v128, 3, v8
	v_mul_lo_u16_e32 v8, 11, v128
	v_sub_u16_e32 v8, v250, v8
	v_and_b32_e32 v129, 0xff, v8
	v_lshlrev_b32_e32 v8, 6, v129
	s_waitcnt lgkmcnt(0)
	; wave barrier
	s_waitcnt lgkmcnt(0)
	ds_read_b128 v[0:3], v208
	ds_read_b128 v[32:35], v208 offset:4400
	ds_read_b128 v[28:31], v208 offset:8800
	;; [unrolled: 1-line block ×7, first 2 shown]
	global_load_dwordx4 v[58:61], v8, s[8:9]
	ds_read_b128 v[44:47], v208 offset:14080
	ds_read_b128 v[48:51], v208 offset:18480
	global_load_dwordx4 v[54:57], v8, s[8:9] offset:48
	global_load_dwordx4 v[100:103], v8, s[8:9] offset:16
	;; [unrolled: 1-line block ×3, first 2 shown]
	v_mul_lo_u16_sdwa v8, v138, s0 dst_sel:DWORD dst_unused:UNUSED_PAD src0_sel:BYTE_0 src1_sel:DWORD
	v_sub_u16_sdwa v9, v138, v8 dst_sel:DWORD dst_unused:UNUSED_PAD src0_sel:DWORD src1_sel:BYTE_1
	v_lshrrev_b16_e32 v9, 1, v9
	v_and_b32_e32 v9, 0x7f, v9
	v_add_u16_sdwa v8, v9, v8 dst_sel:DWORD dst_unused:UNUSED_PAD src0_sel:DWORD src1_sel:BYTE_1
	v_lshrrev_b16_e32 v130, 3, v8
	v_mul_lo_u16_e32 v8, 11, v130
	v_sub_u16_e32 v8, v138, v8
	v_and_b32_e32 v131, 0xff, v8
	v_lshlrev_b32_e32 v12, 6, v131
	global_load_dwordx4 v[154:157], v12, s[8:9]
	ds_read_b128 v[8:11], v208 offset:1760
	global_load_dwordx4 v[158:161], v12, s[8:9] offset:48
	global_load_dwordx4 v[162:165], v12, s[8:9] offset:32
	;; [unrolled: 1-line block ×3, first 2 shown]
	v_mul_lo_u16_sdwa v12, v136, s0 dst_sel:DWORD dst_unused:UNUSED_PAD src0_sel:BYTE_0 src1_sel:DWORD
	v_sub_u16_sdwa v13, v136, v12 dst_sel:DWORD dst_unused:UNUSED_PAD src0_sel:DWORD src1_sel:BYTE_1
	v_lshrrev_b16_e32 v13, 1, v13
	v_and_b32_e32 v13, 0x7f, v13
	v_add_u16_sdwa v12, v13, v12 dst_sel:DWORD dst_unused:UNUSED_PAD src0_sel:DWORD src1_sel:BYTE_1
	v_lshrrev_b16_e32 v132, 3, v12
	v_mul_lo_u16_e32 v12, 11, v132
	v_sub_u16_e32 v12, v136, v12
	v_and_b32_e32 v133, 0xff, v12
	s_mov_b64 s[12:13], 0xa5
	v_lshlrev_b32_e32 v12, 6, v133
	v_lshl_add_u64 v[84:85], v[250:251], 0, s[12:13]
	global_load_dwordx4 v[174:177], v12, s[8:9]
	global_load_dwordx4 v[170:173], v12, s[8:9] offset:48
	global_load_dwordx4 v[182:185], v12, s[8:9] offset:16
	;; [unrolled: 1-line block ×3, first 2 shown]
	v_mul_lo_u16_sdwa v12, v84, s0 dst_sel:DWORD dst_unused:UNUSED_PAD src0_sel:BYTE_0 src1_sel:DWORD
	v_sub_u16_sdwa v13, v84, v12 dst_sel:DWORD dst_unused:UNUSED_PAD src0_sel:DWORD src1_sel:BYTE_1
	v_lshrrev_b16_e32 v13, 1, v13
	v_and_b32_e32 v13, 0x7f, v13
	v_add_u16_sdwa v12, v13, v12 dst_sel:DWORD dst_unused:UNUSED_PAD src0_sel:DWORD src1_sel:BYTE_1
	v_lshrrev_b16_e32 v85, 3, v12
	v_mul_lo_u16_e32 v12, 11, v85
	v_sub_u16_e32 v12, v84, v12
	v_and_b32_e32 v134, 0xff, v12
	s_mov_b64 s[0:1], 0xdc
	v_lshlrev_b32_e32 v12, 6, v134
	v_lshl_add_u64 v[86:87], v[250:251], 0, s[0:1]
	s_mov_b32 s0, 0xba2f
	global_load_dwordx4 v[186:189], v12, s[8:9]
	ds_read_b128 v[68:71], v208 offset:6160
	ds_read_b128 v[72:75], v208 offset:10560
	global_load_dwordx4 v[198:201], v12, s[8:9] offset:16
	global_load_dwordx4 v[190:193], v12, s[8:9] offset:48
	;; [unrolled: 1-line block ×3, first 2 shown]
	v_mul_u32_u24_sdwa v12, v86, s0 dst_sel:DWORD dst_unused:UNUSED_PAD src0_sel:WORD_0 src1_sel:DWORD
	v_lshrrev_b32_e32 v87, 19, v12
	v_mul_lo_u16_e32 v12, 11, v87
	v_sub_u16_e32 v135, v86, v12
	v_lshlrev_b16_e32 v12, 2, v135
	v_lshlrev_b32_e32 v52, 4, v12
	global_load_dwordx4 v[202:205], v52, s[8:9]
	ds_read_b128 v[78:81], v208 offset:14960
	ds_read_b128 v[88:91], v208 offset:19360
	ds_read_b128 v[16:19], v208 offset:2640
	global_load_dwordx4 v[212:215], v52, s[8:9] offset:16
	ds_read_b128 v[92:95], v208 offset:7040
	ds_read_b128 v[96:99], v208 offset:11440
	ds_read_b128 v[104:107], v208 offset:15840
	global_load_dwordx4 v[220:223], v52, s[8:9] offset:32
	;; [unrolled: 4-line block ×3, first 2 shown]
	ds_read_b128 v[140:143], v208 offset:12320
	ds_read_b128 v[144:147], v208 offset:16720
	;; [unrolled: 1-line block ×3, first 2 shown]
	s_mov_b32 s12, 0x134454ff
	s_mov_b32 s13, 0x3fee6f0e
	;; [unrolled: 1-line block ×10, first 2 shown]
	s_waitcnt lgkmcnt(0)
	; wave barrier
	s_waitcnt lgkmcnt(0)
	s_movk_i32 s0, 0x95
	s_movk_i32 s24, 0x1000
	s_mov_b64 s[22:23], 0x1080
	s_waitcnt vmcnt(18)
	v_mul_f64 v[124:125], v[20:21], v[56:57]
	v_mul_f64 v[52:53], v[34:35], v[60:61]
	v_fma_f64 v[126:127], v[32:33], v[58:59], -v[52:53]
	v_mul_f64 v[118:119], v[32:33], v[60:61]
	s_waitcnt vmcnt(17)
	v_mul_f64 v[32:33], v[30:31], v[102:103]
	v_fmac_f64_e32 v[118:119], v[34:35], v[58:59]
	v_fma_f64 v[34:35], v[28:29], v[100:101], -v[32:33]
	v_mul_f64 v[120:121], v[28:29], v[102:103]
	s_waitcnt vmcnt(16)
	v_mul_f64 v[28:29], v[26:27], v[64:65]
	v_fma_f64 v[152:153], v[24:25], v[62:63], -v[28:29]
	v_mul_f64 v[122:123], v[24:25], v[64:65]
	v_mul_f64 v[24:25], v[22:23], v[56:57]
	v_accvgpr_write_b32 a129, v61
	v_fmac_f64_e32 v[120:121], v[30:31], v[100:101]
	v_fma_f64 v[30:31], v[20:21], v[54:55], -v[24:25]
	s_waitcnt vmcnt(15)
	v_mul_f64 v[20:21], v[38:39], v[156:157]
	v_accvgpr_write_b32 a128, v60
	v_accvgpr_write_b32 a127, v59
	;; [unrolled: 1-line block ×4, first 2 shown]
	v_fma_f64 v[60:61], v[36:37], v[154:155], -v[20:21]
	s_waitcnt vmcnt(12)
	v_mul_f64 v[20:21], v[42:43], v[168:169]
	v_accvgpr_write_b32 a132, v64
	v_accvgpr_write_b32 a131, v63
	;; [unrolled: 1-line block ×4, first 2 shown]
	v_fma_f64 v[64:65], v[40:41], v[166:167], -v[20:21]
	v_mul_f64 v[20:21], v[46:47], v[164:165]
	v_accvgpr_write_b32 a124, v56
	v_accvgpr_write_b32 a123, v55
	;; [unrolled: 1-line block ×3, first 2 shown]
	v_fma_f64 v[116:117], v[44:45], v[162:163], -v[20:21]
	v_mul_f64 v[56:57], v[44:45], v[164:165]
	v_mul_f64 v[20:21], v[50:51], v[160:161]
	v_fmac_f64_e32 v[56:57], v[46:47], v[162:163]
	v_fma_f64 v[46:47], v[48:49], v[158:159], -v[20:21]
	s_waitcnt vmcnt(11)
	v_mul_f64 v[20:21], v[70:71], v[176:177]
	v_fmac_f64_e32 v[122:123], v[26:27], v[62:63]
	v_fma_f64 v[62:63], v[68:69], v[174:175], -v[20:21]
	s_waitcnt vmcnt(9)
	v_mul_f64 v[20:21], v[74:75], v[184:185]
	v_mul_f64 v[68:69], v[68:69], v[176:177]
	v_fma_f64 v[66:67], v[72:73], v[182:183], -v[20:21]
	s_waitcnt vmcnt(8)
	v_mul_f64 v[20:21], v[80:81], v[180:181]
	v_fmac_f64_e32 v[68:69], v[70:71], v[174:175]
	v_mul_f64 v[70:71], v[72:73], v[184:185]
	v_fma_f64 v[76:77], v[78:79], v[178:179], -v[20:21]
	v_mul_f64 v[72:73], v[78:79], v[180:181]
	v_mul_f64 v[20:21], v[90:91], v[172:173]
	v_fmac_f64_e32 v[72:73], v[80:81], v[178:179]
	v_fma_f64 v[80:81], v[88:89], v[170:171], -v[20:21]
	s_waitcnt vmcnt(7)
	v_mul_f64 v[20:21], v[94:95], v[188:189]
	v_fma_f64 v[78:79], v[92:93], v[186:187], -v[20:21]
	s_waitcnt vmcnt(6)
	v_mul_f64 v[20:21], v[98:99], v[200:201]
	v_accvgpr_write_b32 a137, v103
	v_fma_f64 v[82:83], v[96:97], v[198:199], -v[20:21]
	s_waitcnt vmcnt(4)
	v_mul_f64 v[20:21], v[106:107], v[196:197]
	v_accvgpr_write_b32 a136, v102
	v_accvgpr_write_b32 a135, v101
	v_accvgpr_write_b32 a134, v100
	v_fmac_f64_e32 v[70:71], v[74:75], v[182:183]
	v_mul_f64 v[74:75], v[88:89], v[172:173]
	v_mul_f64 v[88:89], v[92:93], v[188:189]
	v_fma_f64 v[102:103], v[104:105], v[194:195], -v[20:21]
	v_mul_f64 v[92:93], v[104:105], v[196:197]
	v_mul_f64 v[20:21], v[110:111], v[192:193]
	v_fmac_f64_e32 v[92:93], v[106:107], v[194:195]
	v_fma_f64 v[106:107], v[108:109], v[190:191], -v[20:21]
	s_waitcnt vmcnt(3)
	v_mul_f64 v[20:21], v[114:115], v[204:205]
	v_fmac_f64_e32 v[88:89], v[94:95], v[186:187]
	v_mul_f64 v[94:95], v[108:109], v[192:193]
	v_fma_f64 v[108:109], v[112:113], v[202:203], -v[20:21]
	s_waitcnt vmcnt(2)
	v_mul_f64 v[20:21], v[142:143], v[214:215]
	v_fmac_f64_e32 v[94:95], v[110:111], v[190:191]
	v_fma_f64 v[110:111], v[140:141], v[212:213], -v[20:21]
	s_waitcnt vmcnt(1)
	v_mul_f64 v[20:21], v[146:147], v[222:223]
	v_fmac_f64_e32 v[74:75], v[90:91], v[170:171]
	v_mul_f64 v[90:91], v[96:97], v[200:201]
	v_mul_f64 v[96:97], v[112:113], v[204:205]
	v_fma_f64 v[112:113], v[144:145], v[220:221], -v[20:21]
	s_waitcnt vmcnt(0)
	v_mul_f64 v[20:21], v[150:151], v[226:227]
	v_fmac_f64_e32 v[96:97], v[114:115], v[202:203]
	v_fma_f64 v[114:115], v[148:149], v[224:225], -v[20:21]
	v_add_f64 v[20:21], v[0:1], v[126:127]
	v_add_f64 v[20:21], v[20:21], v[34:35]
	;; [unrolled: 1-line block ×3, first 2 shown]
	v_fmac_f64_e32 v[124:125], v[22:23], v[54:55]
	v_add_f64 v[24:25], v[20:21], v[30:31]
	v_add_f64 v[20:21], v[34:35], v[152:153]
	v_fma_f64 v[20:21], -0.5, v[20:21], v[0:1]
	v_add_f64 v[22:23], v[118:119], -v[124:125]
	v_mul_f64 v[52:53], v[36:37], v[156:157]
	v_fma_f64 v[28:29], s[12:13], v[22:23], v[20:21]
	v_add_f64 v[26:27], v[120:121], -v[122:123]
	v_add_f64 v[32:33], v[126:127], -v[34:35]
	;; [unrolled: 1-line block ×3, first 2 shown]
	v_fmac_f64_e32 v[20:21], s[18:19], v[22:23]
	v_fmac_f64_e32 v[28:29], s[14:15], v[26:27]
	v_add_f64 v[32:33], v[32:33], v[36:37]
	v_fmac_f64_e32 v[20:21], s[20:21], v[26:27]
	v_fmac_f64_e32 v[28:29], s[16:17], v[32:33]
	;; [unrolled: 1-line block ×3, first 2 shown]
	v_add_f64 v[32:33], v[126:127], v[30:31]
	v_fmac_f64_e32 v[0:1], -0.5, v[32:33]
	v_fma_f64 v[32:33], s[18:19], v[26:27], v[0:1]
	v_fmac_f64_e32 v[0:1], s[12:13], v[26:27]
	v_fmac_f64_e32 v[32:33], s[14:15], v[22:23]
	;; [unrolled: 1-line block ×3, first 2 shown]
	v_add_f64 v[22:23], v[2:3], v[118:119]
	v_add_f64 v[22:23], v[22:23], v[120:121]
	v_fmac_f64_e32 v[52:53], v[38:39], v[154:155]
	v_add_f64 v[36:37], v[34:35], -v[126:127]
	v_add_f64 v[38:39], v[152:153], -v[30:31]
	v_add_f64 v[22:23], v[22:23], v[122:123]
	v_add_f64 v[36:37], v[36:37], v[38:39]
	;; [unrolled: 1-line block ×4, first 2 shown]
	v_fmac_f64_e32 v[32:33], s[16:17], v[36:37]
	v_fmac_f64_e32 v[0:1], s[16:17], v[36:37]
	v_fma_f64 v[22:23], -0.5, v[22:23], v[2:3]
	v_add_f64 v[36:37], v[126:127], -v[30:31]
	v_mul_f64 v[54:55], v[40:41], v[168:169]
	v_fma_f64 v[30:31], s[18:19], v[36:37], v[22:23]
	v_add_f64 v[38:39], v[34:35], -v[152:153]
	v_add_f64 v[34:35], v[118:119], -v[120:121]
	;; [unrolled: 1-line block ×3, first 2 shown]
	v_fmac_f64_e32 v[22:23], s[12:13], v[36:37]
	v_fmac_f64_e32 v[30:31], s[20:21], v[38:39]
	v_add_f64 v[34:35], v[34:35], v[40:41]
	v_fmac_f64_e32 v[22:23], s[14:15], v[38:39]
	v_fmac_f64_e32 v[30:31], s[16:17], v[34:35]
	;; [unrolled: 1-line block ×3, first 2 shown]
	v_add_f64 v[34:35], v[118:119], v[124:125]
	v_fmac_f64_e32 v[2:3], -0.5, v[34:35]
	v_fma_f64 v[34:35], s[12:13], v[38:39], v[2:3]
	v_fmac_f64_e32 v[2:3], s[18:19], v[38:39]
	v_fmac_f64_e32 v[34:35], s[20:21], v[36:37]
	;; [unrolled: 1-line block ×3, first 2 shown]
	v_add_f64 v[36:37], v[4:5], v[60:61]
	v_fmac_f64_e32 v[54:55], v[42:43], v[166:167]
	v_add_f64 v[40:41], v[120:121], -v[118:119]
	v_add_f64 v[42:43], v[122:123], -v[124:125]
	v_add_f64 v[36:37], v[36:37], v[64:65]
	v_mul_f64 v[58:59], v[48:49], v[160:161]
	v_add_f64 v[40:41], v[40:41], v[42:43]
	v_add_f64 v[36:37], v[36:37], v[116:117]
	v_fmac_f64_e32 v[58:59], v[50:51], v[158:159]
	v_fmac_f64_e32 v[34:35], s[16:17], v[40:41]
	;; [unrolled: 1-line block ×3, first 2 shown]
	v_add_f64 v[40:41], v[36:37], v[46:47]
	v_add_f64 v[36:37], v[64:65], v[116:117]
	v_fma_f64 v[36:37], -0.5, v[36:37], v[4:5]
	v_add_f64 v[38:39], v[52:53], -v[58:59]
	v_fma_f64 v[44:45], s[12:13], v[38:39], v[36:37]
	v_add_f64 v[42:43], v[54:55], -v[56:57]
	v_add_f64 v[48:49], v[60:61], -v[64:65]
	;; [unrolled: 1-line block ×3, first 2 shown]
	v_fmac_f64_e32 v[36:37], s[18:19], v[38:39]
	v_fmac_f64_e32 v[44:45], s[14:15], v[42:43]
	v_add_f64 v[48:49], v[48:49], v[50:51]
	v_fmac_f64_e32 v[36:37], s[20:21], v[42:43]
	v_fmac_f64_e32 v[44:45], s[16:17], v[48:49]
	;; [unrolled: 1-line block ×3, first 2 shown]
	v_add_f64 v[48:49], v[60:61], v[46:47]
	v_fmac_f64_e32 v[4:5], -0.5, v[48:49]
	v_fma_f64 v[48:49], s[18:19], v[42:43], v[4:5]
	v_fmac_f64_e32 v[4:5], s[12:13], v[42:43]
	v_fmac_f64_e32 v[48:49], s[14:15], v[38:39]
	;; [unrolled: 1-line block ×3, first 2 shown]
	v_add_f64 v[38:39], v[6:7], v[52:53]
	v_add_f64 v[38:39], v[38:39], v[54:55]
	;; [unrolled: 1-line block ×3, first 2 shown]
	v_add_f64 v[50:51], v[64:65], -v[60:61]
	v_add_f64 v[118:119], v[116:117], -v[46:47]
	v_add_f64 v[42:43], v[38:39], v[58:59]
	v_add_f64 v[38:39], v[54:55], v[56:57]
	;; [unrolled: 1-line block ×3, first 2 shown]
	v_fma_f64 v[38:39], -0.5, v[38:39], v[6:7]
	v_add_f64 v[60:61], v[60:61], -v[46:47]
	v_fmac_f64_e32 v[48:49], s[16:17], v[50:51]
	v_fmac_f64_e32 v[4:5], s[16:17], v[50:51]
	v_fma_f64 v[46:47], s[18:19], v[60:61], v[38:39]
	v_add_f64 v[64:65], v[64:65], -v[116:117]
	v_add_f64 v[50:51], v[52:53], -v[54:55]
	;; [unrolled: 1-line block ×3, first 2 shown]
	v_fmac_f64_e32 v[38:39], s[12:13], v[60:61]
	v_fmac_f64_e32 v[46:47], s[20:21], v[64:65]
	v_add_f64 v[50:51], v[50:51], v[116:117]
	v_fmac_f64_e32 v[38:39], s[14:15], v[64:65]
	v_fmac_f64_e32 v[46:47], s[16:17], v[50:51]
	;; [unrolled: 1-line block ×3, first 2 shown]
	v_add_f64 v[50:51], v[52:53], v[58:59]
	v_fmac_f64_e32 v[6:7], -0.5, v[50:51]
	v_fma_f64 v[50:51], s[12:13], v[64:65], v[6:7]
	v_add_f64 v[52:53], v[54:55], -v[52:53]
	v_add_f64 v[54:55], v[56:57], -v[58:59]
	v_fmac_f64_e32 v[6:7], s[18:19], v[64:65]
	v_fmac_f64_e32 v[50:51], s[20:21], v[60:61]
	v_add_f64 v[52:53], v[52:53], v[54:55]
	v_fmac_f64_e32 v[6:7], s[14:15], v[60:61]
	v_fmac_f64_e32 v[50:51], s[16:17], v[52:53]
	;; [unrolled: 1-line block ×3, first 2 shown]
	v_add_f64 v[52:53], v[8:9], v[62:63]
	v_add_f64 v[52:53], v[52:53], v[66:67]
	;; [unrolled: 1-line block ×5, first 2 shown]
	v_fma_f64 v[52:53], -0.5, v[52:53], v[8:9]
	v_add_f64 v[54:55], v[68:69], -v[74:75]
	v_fma_f64 v[60:61], s[12:13], v[54:55], v[52:53]
	v_add_f64 v[58:59], v[70:71], -v[72:73]
	v_add_f64 v[64:65], v[62:63], -v[66:67]
	;; [unrolled: 1-line block ×3, first 2 shown]
	v_fmac_f64_e32 v[52:53], s[18:19], v[54:55]
	v_fmac_f64_e32 v[60:61], s[14:15], v[58:59]
	v_add_f64 v[64:65], v[64:65], v[116:117]
	v_fmac_f64_e32 v[52:53], s[20:21], v[58:59]
	v_fmac_f64_e32 v[60:61], s[16:17], v[64:65]
	;; [unrolled: 1-line block ×3, first 2 shown]
	v_add_f64 v[64:65], v[62:63], v[80:81]
	v_fmac_f64_e32 v[8:9], -0.5, v[64:65]
	v_fma_f64 v[64:65], s[18:19], v[58:59], v[8:9]
	v_fmac_f64_e32 v[8:9], s[12:13], v[58:59]
	v_fmac_f64_e32 v[64:65], s[14:15], v[54:55]
	;; [unrolled: 1-line block ×3, first 2 shown]
	v_add_f64 v[54:55], v[10:11], v[68:69]
	v_add_f64 v[54:55], v[54:55], v[70:71]
	;; [unrolled: 1-line block ×3, first 2 shown]
	v_add_f64 v[116:117], v[66:67], -v[62:63]
	v_add_f64 v[118:119], v[76:77], -v[80:81]
	v_add_f64 v[58:59], v[54:55], v[74:75]
	v_add_f64 v[54:55], v[70:71], v[72:73]
	;; [unrolled: 1-line block ×3, first 2 shown]
	v_fma_f64 v[54:55], -0.5, v[54:55], v[10:11]
	v_add_f64 v[80:81], v[62:63], -v[80:81]
	v_fmac_f64_e32 v[64:65], s[16:17], v[116:117]
	v_fmac_f64_e32 v[8:9], s[16:17], v[116:117]
	v_fma_f64 v[62:63], s[18:19], v[80:81], v[54:55]
	v_add_f64 v[76:77], v[66:67], -v[76:77]
	v_add_f64 v[66:67], v[68:69], -v[70:71]
	;; [unrolled: 1-line block ×3, first 2 shown]
	v_fmac_f64_e32 v[54:55], s[12:13], v[80:81]
	v_fmac_f64_e32 v[62:63], s[20:21], v[76:77]
	v_add_f64 v[66:67], v[66:67], v[116:117]
	v_fmac_f64_e32 v[54:55], s[14:15], v[76:77]
	v_fmac_f64_e32 v[62:63], s[16:17], v[66:67]
	;; [unrolled: 1-line block ×3, first 2 shown]
	v_add_f64 v[66:67], v[68:69], v[74:75]
	v_fmac_f64_e32 v[10:11], -0.5, v[66:67]
	v_fma_f64 v[66:67], s[12:13], v[76:77], v[10:11]
	v_add_f64 v[68:69], v[70:71], -v[68:69]
	v_add_f64 v[70:71], v[72:73], -v[74:75]
	v_fmac_f64_e32 v[10:11], s[18:19], v[76:77]
	v_fmac_f64_e32 v[66:67], s[20:21], v[80:81]
	v_add_f64 v[68:69], v[68:69], v[70:71]
	v_fmac_f64_e32 v[10:11], s[14:15], v[80:81]
	v_fmac_f64_e32 v[66:67], s[16:17], v[68:69]
	;; [unrolled: 1-line block ×3, first 2 shown]
	v_add_f64 v[68:69], v[16:17], v[78:79]
	v_add_f64 v[68:69], v[68:69], v[82:83]
	;; [unrolled: 1-line block ×5, first 2 shown]
	v_fmac_f64_e32 v[90:91], v[98:99], v[198:199]
	v_fma_f64 v[68:69], -0.5, v[68:69], v[16:17]
	v_add_f64 v[70:71], v[88:89], -v[94:95]
	v_fma_f64 v[76:77], s[12:13], v[70:71], v[68:69]
	v_add_f64 v[74:75], v[90:91], -v[92:93]
	v_add_f64 v[80:81], v[78:79], -v[82:83]
	;; [unrolled: 1-line block ×3, first 2 shown]
	v_fmac_f64_e32 v[68:69], s[18:19], v[70:71]
	v_fmac_f64_e32 v[76:77], s[14:15], v[74:75]
	v_add_f64 v[80:81], v[80:81], v[116:117]
	v_fmac_f64_e32 v[68:69], s[20:21], v[74:75]
	v_fmac_f64_e32 v[76:77], s[16:17], v[80:81]
	;; [unrolled: 1-line block ×3, first 2 shown]
	v_add_f64 v[80:81], v[78:79], v[106:107]
	v_fmac_f64_e32 v[16:17], -0.5, v[80:81]
	v_fma_f64 v[80:81], s[18:19], v[74:75], v[16:17]
	v_fmac_f64_e32 v[16:17], s[12:13], v[74:75]
	v_fmac_f64_e32 v[80:81], s[14:15], v[70:71]
	;; [unrolled: 1-line block ×3, first 2 shown]
	v_add_f64 v[70:71], v[18:19], v[88:89]
	v_add_f64 v[70:71], v[70:71], v[90:91]
	;; [unrolled: 1-line block ×3, first 2 shown]
	v_add_f64 v[116:117], v[82:83], -v[78:79]
	v_add_f64 v[118:119], v[102:103], -v[106:107]
	v_add_f64 v[74:75], v[70:71], v[94:95]
	v_add_f64 v[70:71], v[90:91], v[92:93]
	;; [unrolled: 1-line block ×3, first 2 shown]
	v_fma_f64 v[70:71], -0.5, v[70:71], v[18:19]
	v_add_f64 v[106:107], v[78:79], -v[106:107]
	v_fmac_f64_e32 v[80:81], s[16:17], v[116:117]
	v_fmac_f64_e32 v[16:17], s[16:17], v[116:117]
	v_fma_f64 v[78:79], s[18:19], v[106:107], v[70:71]
	v_add_f64 v[102:103], v[82:83], -v[102:103]
	v_add_f64 v[82:83], v[88:89], -v[90:91]
	v_add_f64 v[116:117], v[94:95], -v[92:93]
	v_fmac_f64_e32 v[70:71], s[12:13], v[106:107]
	v_fmac_f64_e32 v[78:79], s[20:21], v[102:103]
	v_add_f64 v[82:83], v[82:83], v[116:117]
	v_fmac_f64_e32 v[70:71], s[14:15], v[102:103]
	v_mul_f64 v[104:105], v[148:149], v[226:227]
	v_fmac_f64_e32 v[78:79], s[16:17], v[82:83]
	v_fmac_f64_e32 v[70:71], s[16:17], v[82:83]
	v_add_f64 v[82:83], v[88:89], v[94:95]
	v_add_f64 v[88:89], v[90:91], -v[88:89]
	v_add_f64 v[90:91], v[92:93], -v[94:95]
	v_mul_f64 v[98:99], v[140:141], v[214:215]
	v_mul_f64 v[100:101], v[144:145], v[222:223]
	v_fmac_f64_e32 v[104:105], v[150:151], v[224:225]
	v_fmac_f64_e32 v[18:19], -0.5, v[82:83]
	v_add_f64 v[88:89], v[88:89], v[90:91]
	v_add_f64 v[90:91], v[110:111], v[112:113]
	v_fmac_f64_e32 v[98:99], v[142:143], v[212:213]
	v_fmac_f64_e32 v[100:101], v[146:147], v[220:221]
	v_fma_f64 v[82:83], s[12:13], v[102:103], v[18:19]
	v_fmac_f64_e32 v[18:19], s[18:19], v[102:103]
	v_fma_f64 v[92:93], -0.5, v[90:91], v[12:13]
	v_add_f64 v[90:91], v[96:97], -v[104:105]
	v_fmac_f64_e32 v[82:83], s[20:21], v[106:107]
	v_fmac_f64_e32 v[18:19], s[14:15], v[106:107]
	v_fma_f64 v[106:107], s[12:13], v[90:91], v[92:93]
	v_add_f64 v[94:95], v[98:99], -v[100:101]
	v_add_f64 v[102:103], v[108:109], -v[110:111]
	;; [unrolled: 1-line block ×3, first 2 shown]
	v_fmac_f64_e32 v[92:93], s[18:19], v[90:91]
	v_fmac_f64_e32 v[106:107], s[14:15], v[94:95]
	v_add_f64 v[102:103], v[102:103], v[116:117]
	v_fmac_f64_e32 v[92:93], s[20:21], v[94:95]
	v_fmac_f64_e32 v[106:107], s[16:17], v[102:103]
	v_fmac_f64_e32 v[92:93], s[16:17], v[102:103]
	v_add_f64 v[102:103], v[108:109], v[114:115]
	v_fmac_f64_e32 v[82:83], s[16:17], v[88:89]
	v_fmac_f64_e32 v[18:19], s[16:17], v[88:89]
	v_add_f64 v[88:89], v[12:13], v[108:109]
	v_fmac_f64_e32 v[12:13], -0.5, v[102:103]
	v_fma_f64 v[116:117], s[18:19], v[94:95], v[12:13]
	v_add_f64 v[102:103], v[110:111], -v[108:109]
	v_add_f64 v[118:119], v[112:113], -v[114:115]
	v_fmac_f64_e32 v[12:13], s[12:13], v[94:95]
	v_add_f64 v[88:89], v[88:89], v[110:111]
	v_fmac_f64_e32 v[116:117], s[14:15], v[90:91]
	v_add_f64 v[102:103], v[102:103], v[118:119]
	;; [unrolled: 2-line block ×3, first 2 shown]
	v_add_f64 v[88:89], v[88:89], v[112:113]
	v_fmac_f64_e32 v[116:117], s[16:17], v[102:103]
	v_fmac_f64_e32 v[12:13], s[16:17], v[102:103]
	v_fma_f64 v[94:95], -0.5, v[94:95], v[14:15]
	v_add_f64 v[102:103], v[108:109], -v[114:115]
	v_add_f64 v[88:89], v[88:89], v[114:115]
	v_fma_f64 v[108:109], s[18:19], v[102:103], v[94:95]
	v_add_f64 v[110:111], v[110:111], -v[112:113]
	v_add_f64 v[112:113], v[96:97], -v[98:99]
	v_add_f64 v[114:115], v[104:105], -v[100:101]
	v_fmac_f64_e32 v[94:95], s[12:13], v[102:103]
	v_fmac_f64_e32 v[108:109], s[20:21], v[110:111]
	v_add_f64 v[112:113], v[112:113], v[114:115]
	v_fmac_f64_e32 v[94:95], s[14:15], v[110:111]
	v_fmac_f64_e32 v[108:109], s[16:17], v[112:113]
	;; [unrolled: 1-line block ×3, first 2 shown]
	v_add_f64 v[112:113], v[96:97], v[104:105]
	v_add_f64 v[90:91], v[14:15], v[96:97]
	v_fmac_f64_e32 v[14:15], -0.5, v[112:113]
	v_add_f64 v[90:91], v[90:91], v[98:99]
	v_fma_f64 v[118:119], s[12:13], v[110:111], v[14:15]
	v_add_f64 v[96:97], v[98:99], -v[96:97]
	v_add_f64 v[98:99], v[100:101], -v[104:105]
	v_fmac_f64_e32 v[14:15], s[18:19], v[110:111]
	v_fmac_f64_e32 v[118:119], s[20:21], v[102:103]
	v_add_f64 v[96:97], v[96:97], v[98:99]
	v_fmac_f64_e32 v[14:15], s[14:15], v[102:103]
	v_fmac_f64_e32 v[118:119], s[16:17], v[96:97]
	;; [unrolled: 1-line block ×3, first 2 shown]
	v_mul_u32_u24_e32 v96, 55, v128
	v_add_lshl_u32 v96, v96, v129, 4
	ds_write_b128 v96, v[24:27]
	ds_write_b128 v96, v[28:31] offset:176
	ds_write_b128 v96, v[32:35] offset:352
	;; [unrolled: 1-line block ×3, first 2 shown]
	v_mul_u32_u24_e32 v0, 55, v130
	v_add_lshl_u32 v0, v0, v131, 4
	ds_write_b128 v96, v[20:23] offset:704
	ds_write_b128 v0, v[40:43]
	ds_write_b128 v0, v[44:47] offset:176
	ds_write_b128 v0, v[48:51] offset:352
	ds_write_b128 v0, v[4:7] offset:528
	v_accvgpr_write_b32 a220, v0
	ds_write_b128 v0, v[36:39] offset:704
	v_mul_u32_u24_e32 v0, 55, v132
	v_add_lshl_u32 v0, v0, v133, 4
	ds_write_b128 v0, v[56:59]
	ds_write_b128 v0, v[60:63] offset:176
	ds_write_b128 v0, v[64:67] offset:352
	;; [unrolled: 1-line block ×3, first 2 shown]
	v_accvgpr_write_b32 a187, v0
	ds_write_b128 v0, v[52:55] offset:704
	v_mul_u32_u24_e32 v0, 55, v85
	v_add_lshl_u32 v0, v0, v134, 4
	ds_write_b128 v0, v[72:75]
	ds_write_b128 v0, v[76:79] offset:176
	ds_write_b128 v0, v[80:83] offset:352
	;; [unrolled: 1-line block ×3, first 2 shown]
	v_accvgpr_write_b32 a186, v0
	ds_write_b128 v0, v[68:71] offset:704
	v_mad_legacy_u16 v0, v87, 55, v135
	v_lshlrev_b32_e32 v251, 4, v0
	v_mul_lo_u16_sdwa v0, v136, s0 dst_sel:DWORD dst_unused:UNUSED_PAD src0_sel:BYTE_0 src1_sel:DWORD
	v_lshrrev_b16_e32 v0, 13, v0
	v_mul_lo_u16_e32 v0, 55, v0
	v_add_f64 v[90:91], v[90:91], v[100:101]
	v_sub_u16_e32 v85, v136, v0
	v_mov_b32_e32 v0, 6
	v_accvgpr_write_b32 a150, v166
	v_accvgpr_write_b32 a158, v174
	v_accvgpr_write_b32 a166, v182
	v_accvgpr_write_b32 a162, v178
	v_accvgpr_write_b32 a154, v170
	v_accvgpr_write_b32 a178, v194
	v_accvgpr_write_b32 a174, v190
	v_add_f64 v[90:91], v[90:91], v[104:105]
	v_lshlrev_b32_e32 v148, 6, v250
	v_lshlrev_b32_sdwa v1, v0, v85 dst_sel:DWORD dst_unused:UNUSED_PAD src0_sel:DWORD src1_sel:BYTE_0
	v_accvgpr_write_b32 a151, v167
	v_accvgpr_write_b32 a152, v168
	;; [unrolled: 1-line block ×21, first 2 shown]
	ds_write_b128 v251, v[88:91]
	ds_write_b128 v251, v[106:109] offset:176
	ds_write_b128 v251, v[116:119] offset:352
	;; [unrolled: 1-line block ×4, first 2 shown]
	s_waitcnt lgkmcnt(0)
	; wave barrier
	s_waitcnt lgkmcnt(0)
	global_load_dwordx4 v[192:195], v148, s[8:9] offset:704
	global_load_dwordx4 v[180:183], v148, s[8:9] offset:720
	;; [unrolled: 1-line block ×6, first 2 shown]
	ds_read_b128 v[4:7], v208 offset:4400
	ds_read_b128 v[8:11], v208 offset:8800
	;; [unrolled: 1-line block ×4, first 2 shown]
	global_load_dwordx4 v[150:153], v1, s[8:9] offset:736
	global_load_dwordx4 v[142:145], v1, s[8:9] offset:752
	v_mul_lo_u16_sdwa v1, v84, s0 dst_sel:DWORD dst_unused:UNUSED_PAD src0_sel:BYTE_0 src1_sel:DWORD
	v_lshrrev_b16_e32 v1, 13, v1
	v_mul_lo_u16_e32 v1, 55, v1
	v_sub_u16_e32 v87, v84, v1
	v_accvgpr_write_b32 a138, v154
	v_accvgpr_write_b32 a146, v162
	;; [unrolled: 1-line block ×3, first 2 shown]
	v_lshlrev_b32_sdwa v0, v0, v87 dst_sel:DWORD dst_unused:UNUSED_PAD src0_sel:DWORD src1_sel:BYTE_0
	s_movk_i32 s0, 0x29e5
	v_accvgpr_write_b32 a139, v155
	v_accvgpr_write_b32 a140, v156
	;; [unrolled: 1-line block ×9, first 2 shown]
	ds_read_b128 v[20:23], v208 offset:5280
	global_load_dwordx4 v[154:157], v0, s[8:9] offset:704
	global_load_dwordx4 v[158:161], v0, s[8:9] offset:752
	global_load_dwordx4 v[176:179], v0, s[8:9] offset:720
	global_load_dwordx4 v[162:165], v0, s[8:9] offset:736
	v_mul_u32_u24_sdwa v0, v86, s0 dst_sel:DWORD dst_unused:UNUSED_PAD src0_sel:WORD_0 src1_sel:DWORD
	v_sub_u16_sdwa v1, v86, v0 dst_sel:DWORD dst_unused:UNUSED_PAD src0_sel:DWORD src1_sel:WORD_1
	v_lshrrev_b16_e32 v1, 1, v1
	v_add_u16_sdwa v0, v1, v0 dst_sel:DWORD dst_unused:UNUSED_PAD src0_sel:DWORD src1_sel:WORD_1
	v_lshrrev_b16_e32 v0, 5, v0
	v_mul_lo_u16_e32 v0, 55, v0
	v_mov_b32_e32 v149, 0
	v_sub_u16_e32 v118, v86, v0
	v_lshl_add_u64 v[32:33], s[8:9], 0, v[148:149]
	v_lshlrev_b16_e32 v148, 6, v118
	v_accvgpr_write_b32 a170, v186
	v_lshl_add_u64 v[140:141], s[8:9], 0, v[148:149]
	v_accvgpr_write_b32 a171, v187
	v_accvgpr_write_b32 a172, v188
	;; [unrolled: 1-line block ×3, first 2 shown]
	global_load_dwordx4 v[184:187], v[140:141], off offset:704
	ds_read_b128 v[24:27], v208 offset:9680
	ds_read_b128 v[28:31], v208 offset:14080
	;; [unrolled: 1-line block ×3, first 2 shown]
	global_load_dwordx4 v[252:255], v[140:141], off offset:720
	ds_read_b128 v[38:41], v208 offset:6160
	ds_read_b128 v[42:45], v208 offset:10560
	;; [unrolled: 1-line block ×8, first 2 shown]
	global_load_dwordx4 v[0:3], v[140:141], off offset:736
	v_accvgpr_write_b32 a221, v96
	ds_read_b128 v[128:131], v208 offset:7920
	ds_read_b128 v[132:135], v208 offset:12320
	v_lshlrev_b32_e32 v209, 4, v118
	v_lshlrev_b32_e32 v148, 6, v138
	v_accvgpr_write_b32 a182, v198
	v_accvgpr_write_b32 a183, v199
	;; [unrolled: 1-line block ×20, first 2 shown]
	s_waitcnt vmcnt(14) lgkmcnt(14)
	v_mul_f64 v[58:59], v[6:7], v[194:195]
	v_fma_f64 v[104:105], v[4:5], v[192:193], -v[58:59]
	v_mul_f64 v[102:103], v[4:5], v[194:195]
	s_waitcnt vmcnt(13)
	v_mul_f64 v[4:5], v[10:11], v[182:183]
	v_fma_f64 v[110:111], v[8:9], v[180:181], -v[4:5]
	s_waitcnt vmcnt(12)
	v_mul_f64 v[4:5], v[14:15], v[174:175]
	v_fma_f64 v[112:113], v[12:13], v[172:173], -v[4:5]
	;; [unrolled: 3-line block ×3, first 2 shown]
	s_waitcnt lgkmcnt(13)
	v_mul_f64 v[4:5], v[22:23], v[194:195]
	v_fma_f64 v[94:95], v[20:21], v[192:193], -v[4:5]
	s_waitcnt lgkmcnt(12)
	v_mul_f64 v[4:5], v[26:27], v[182:183]
	v_fma_f64 v[96:97], v[24:25], v[180:181], -v[4:5]
	s_waitcnt lgkmcnt(11)
	v_mul_f64 v[4:5], v[30:31], v[174:175]
	v_fma_f64 v[98:99], v[28:29], v[172:173], -v[4:5]
	s_waitcnt lgkmcnt(10)
	v_mul_f64 v[4:5], v[36:37], v[170:171]
	v_fma_f64 v[100:101], v[34:35], v[168:169], -v[4:5]
	s_waitcnt vmcnt(10) lgkmcnt(9)
	v_mul_f64 v[4:5], v[40:41], v[78:79]
	v_fma_f64 v[74:75], v[38:39], v[76:77], -v[4:5]
	v_mul_f64 v[66:67], v[38:39], v[78:79]
	v_accvgpr_write_b32 a207, v79
	s_waitcnt vmcnt(9) lgkmcnt(8)
	v_mul_f64 v[4:5], v[44:45], v[72:73]
	v_accvgpr_write_b32 a206, v78
	v_accvgpr_write_b32 a205, v77
	;; [unrolled: 1-line block ×3, first 2 shown]
	v_fmac_f64_e32 v[66:67], v[40:41], v[76:77]
	v_fma_f64 v[76:77], v[42:43], v[70:71], -v[4:5]
	s_waitcnt vmcnt(8) lgkmcnt(7)
	v_mul_f64 v[4:5], v[48:49], v[152:153]
	v_fma_f64 v[78:79], v[46:47], v[150:151], -v[4:5]
	s_waitcnt vmcnt(7) lgkmcnt(6)
	v_mul_f64 v[4:5], v[52:53], v[144:145]
	;; [unrolled: 3-line block ×3, first 2 shown]
	v_accvgpr_write_b32 a199, v73
	v_fma_f64 v[58:59], v[54:55], v[154:155], -v[4:5]
	s_waitcnt vmcnt(4) lgkmcnt(4)
	v_mul_f64 v[4:5], v[64:65], v[178:179]
	v_mul_f64 v[68:69], v[42:43], v[72:73]
	v_accvgpr_write_b32 a198, v72
	v_accvgpr_write_b32 a197, v71
	;; [unrolled: 1-line block ×3, first 2 shown]
	v_mul_f64 v[72:73], v[50:51], v[144:145]
	v_fma_f64 v[60:61], v[62:63], v[176:177], -v[4:5]
	s_waitcnt vmcnt(3) lgkmcnt(3)
	v_mul_f64 v[4:5], v[122:123], v[164:165]
	v_fmac_f64_e32 v[72:73], v[52:53], v[142:143]
	v_mul_f64 v[52:53], v[62:63], v[178:179]
	v_fma_f64 v[62:63], v[120:121], v[162:163], -v[4:5]
	s_waitcnt lgkmcnt(2)
	v_mul_f64 v[4:5], v[126:127], v[160:161]
	v_fmac_f64_e32 v[52:53], v[64:65], v[176:177]
	v_fma_f64 v[64:65], v[124:125], v[158:159], -v[4:5]
	s_waitcnt vmcnt(2) lgkmcnt(1)
	v_mul_f64 v[4:5], v[130:131], v[186:187]
	v_fma_f64 v[40:41], v[128:129], v[184:185], -v[4:5]
	s_waitcnt vmcnt(1) lgkmcnt(0)
	v_mul_f64 v[4:5], v[134:135], v[254:255]
	v_fmac_f64_e32 v[102:103], v[6:7], v[192:193]
	v_fmac_f64_e32 v[68:69], v[44:45], v[70:71]
	v_fma_f64 v[44:45], v[132:133], v[252:253], -v[4:5]
	ds_read_b128 v[4:7], v208 offset:16720
	v_mul_f64 v[88:89], v[24:25], v[182:183]
	v_mul_f64 v[106:107], v[8:9], v[182:183]
	v_fmac_f64_e32 v[88:89], v[26:27], v[180:181]
	ds_read_b128 v[24:27], v208
	s_waitcnt vmcnt(0) lgkmcnt(1)
	v_mul_f64 v[8:9], v[6:7], v[2:3]
	v_mul_f64 v[38:39], v[4:5], v[2:3]
	;; [unrolled: 1-line block ×3, first 2 shown]
	v_fma_f64 v[46:47], v[4:5], v[0:1], -v[8:9]
	v_fmac_f64_e32 v[38:39], v[6:7], v[0:1]
	global_load_dwordx4 v[4:7], v[140:141], off offset:752
	v_fmac_f64_e32 v[106:107], v[10:11], v[180:181]
	ds_read_b128 v[8:11], v208 offset:21120
	v_mul_f64 v[108:109], v[12:13], v[174:175]
	v_fmac_f64_e32 v[70:71], v[48:49], v[150:151]
	v_fmac_f64_e32 v[108:109], v[14:15], v[172:173]
	v_mul_f64 v[114:115], v[16:17], v[170:171]
	v_fmac_f64_e32 v[114:115], v[18:19], v[168:169]
	v_mul_f64 v[90:91], v[28:29], v[174:175]
	v_mul_f64 v[82:83], v[20:21], v[194:195]
	v_fmac_f64_e32 v[90:91], v[30:31], v[172:173]
	v_fmac_f64_e32 v[82:83], v[22:23], v[192:193]
	v_mul_f64 v[50:51], v[54:55], v[156:157]
	v_mul_f64 v[92:93], v[34:35], v[170:171]
	v_fmac_f64_e32 v[50:51], v[56:57], v[154:155]
	v_mul_f64 v[54:55], v[120:121], v[164:165]
	v_mul_f64 v[56:57], v[124:125], v[160:161]
	v_fmac_f64_e32 v[92:93], v[36:37], v[168:169]
	v_fmac_f64_e32 v[54:55], v[122:123], v[162:163]
	v_mul_f64 v[34:35], v[128:129], v[186:187]
	v_mul_f64 v[36:37], v[132:133], v[254:255]
	v_add_f64 v[120:121], v[102:103], -v[106:107]
	v_add_f64 v[122:123], v[114:115], -v[108:109]
	;; [unrolled: 1-line block ×4, first 2 shown]
	v_fmac_f64_e32 v[56:57], v[126:127], v[158:159]
	v_fmac_f64_e32 v[34:35], v[130:131], v[184:185]
	;; [unrolled: 1-line block ×3, first 2 shown]
	v_add_f64 v[126:127], v[120:121], v[122:123]
	v_add_f64 v[130:131], v[106:107], -v[108:109]
	v_add_f64 v[134:135], v[110:111], -v[112:113]
	v_accvgpr_write_b32 a195, v145
	v_accvgpr_write_b32 a203, v153
	;; [unrolled: 1-line block ×28, first 2 shown]
	s_waitcnt vmcnt(0) lgkmcnt(0)
	v_mul_f64 v[12:13], v[10:11], v[6:7]
	v_mul_f64 v[42:43], v[8:9], v[6:7]
	v_fma_f64 v[48:49], v[8:9], v[4:5], -v[12:13]
	v_fmac_f64_e32 v[42:43], v[10:11], v[4:5]
	v_add_f64 v[8:9], v[24:25], v[104:105]
	v_add_f64 v[10:11], v[26:27], v[102:103]
	;; [unrolled: 1-line block ×8, first 2 shown]
	ds_read_b128 v[16:19], v208 offset:880
	ds_read_b128 v[12:15], v208 offset:1760
	;; [unrolled: 1-line block ×4, first 2 shown]
	s_waitcnt lgkmcnt(0)
	; wave barrier
	s_waitcnt lgkmcnt(0)
	ds_write_b128 v208, v[28:31]
	v_add_f64 v[28:29], v[104:105], -v[110:111]
	v_add_f64 v[30:31], v[116:117], -v[112:113]
	v_add_f64 v[124:125], v[28:29], v[30:31]
	v_add_f64 v[28:29], v[110:111], v[112:113]
	;; [unrolled: 1-line block ×3, first 2 shown]
	v_fma_f64 v[28:29], -0.5, v[28:29], v[24:25]
	v_fma_f64 v[30:31], -0.5, v[30:31], v[26:27]
	v_fma_f64 v[120:121], s[12:13], v[128:129], v[28:29]
	v_fma_f64 v[122:123], s[18:19], v[132:133], v[30:31]
	v_fmac_f64_e32 v[120:121], s[14:15], v[130:131]
	v_fmac_f64_e32 v[122:123], s[20:21], v[134:135]
	;; [unrolled: 1-line block ×4, first 2 shown]
	ds_write_b128 v208, v[120:123] offset:880
	v_add_f64 v[120:121], v[104:105], v[116:117]
	v_add_f64 v[104:105], v[110:111], -v[104:105]
	v_add_f64 v[110:111], v[112:113], -v[116:117]
	v_add_f64 v[110:111], v[104:105], v[110:111]
	v_add_f64 v[104:105], v[102:103], v[114:115]
	v_fmac_f64_e32 v[24:25], -0.5, v[120:121]
	v_fmac_f64_e32 v[26:27], -0.5, v[104:105]
	v_add_f64 v[102:103], v[106:107], -v[102:103]
	v_add_f64 v[104:105], v[108:109], -v[114:115]
	v_add_f64 v[106:107], v[102:103], v[104:105]
	v_fma_f64 v[102:103], s[18:19], v[130:131], v[24:25]
	v_fma_f64 v[104:105], s[12:13], v[134:135], v[26:27]
	v_fmac_f64_e32 v[24:25], s[12:13], v[130:131]
	v_fmac_f64_e32 v[26:27], s[18:19], v[134:135]
	;; [unrolled: 1-line block ×6, first 2 shown]
	ds_write_b128 v208, v[24:27] offset:2640
	v_add_f64 v[24:25], v[16:17], v[94:95]
	v_add_f64 v[26:27], v[18:19], v[82:83]
	;; [unrolled: 1-line block ×6, first 2 shown]
	v_fmac_f64_e32 v[28:29], s[18:19], v[128:129]
	v_fmac_f64_e32 v[30:31], s[12:13], v[132:133]
	v_add_f64 v[24:25], v[24:25], v[100:101]
	v_add_f64 v[26:27], v[26:27], v[92:93]
	v_fmac_f64_e32 v[28:29], s[20:21], v[130:131]
	v_fmac_f64_e32 v[30:31], s[14:15], v[134:135]
	ds_write_b128 v208, v[24:27] offset:4400
	v_add_f64 v[24:25], v[94:95], -v[96:97]
	v_add_f64 v[26:27], v[100:101], -v[98:99]
	v_fmac_f64_e32 v[102:103], s[14:15], v[128:129]
	v_fmac_f64_e32 v[104:105], s[20:21], v[132:133]
	;; [unrolled: 1-line block ×4, first 2 shown]
	v_add_f64 v[26:27], v[24:25], v[26:27]
	v_add_f64 v[24:25], v[96:97], v[98:99]
	v_fmac_f64_e32 v[102:103], s[16:17], v[110:111]
	v_fmac_f64_e32 v[104:105], s[16:17], v[106:107]
	ds_write_b128 v208, v[28:31] offset:3520
	v_fma_f64 v[24:25], -0.5, v[24:25], v[16:17]
	v_add_f64 v[30:31], v[82:83], -v[92:93]
	ds_write_b128 v208, v[102:105] offset:1760
	v_add_f64 v[104:105], v[88:89], -v[90:91]
	v_fma_f64 v[28:29], s[12:13], v[30:31], v[24:25]
	v_fmac_f64_e32 v[24:25], s[18:19], v[30:31]
	v_fmac_f64_e32 v[28:29], s[14:15], v[104:105]
	;; [unrolled: 1-line block ×5, first 2 shown]
	v_add_f64 v[26:27], v[94:95], v[100:101]
	v_fmac_f64_e32 v[16:17], -0.5, v[26:27]
	v_add_f64 v[26:27], v[96:97], -v[94:95]
	v_add_f64 v[102:103], v[98:99], -v[100:101]
	v_add_f64 v[26:27], v[26:27], v[102:103]
	v_fma_f64 v[102:103], s[18:19], v[104:105], v[16:17]
	v_fmac_f64_e32 v[16:17], s[12:13], v[104:105]
	v_fmac_f64_e32 v[102:103], s[14:15], v[30:31]
	;; [unrolled: 1-line block ×5, first 2 shown]
	v_add_f64 v[26:27], v[88:89], v[90:91]
	v_fma_f64 v[26:27], -0.5, v[26:27], v[18:19]
	v_add_f64 v[94:95], v[94:95], -v[100:101]
	v_add_f64 v[96:97], v[96:97], -v[98:99]
	;; [unrolled: 1-line block ×4, first 2 shown]
	v_add_f64 v[98:99], v[30:31], v[98:99]
	v_fma_f64 v[30:31], s[18:19], v[94:95], v[26:27]
	v_fmac_f64_e32 v[26:27], s[12:13], v[94:95]
	v_fmac_f64_e32 v[30:31], s[20:21], v[96:97]
	;; [unrolled: 1-line block ×5, first 2 shown]
	v_add_f64 v[98:99], v[82:83], v[92:93]
	v_fmac_f64_e32 v[18:19], -0.5, v[98:99]
	v_add_f64 v[82:83], v[88:89], -v[82:83]
	v_add_f64 v[88:89], v[90:91], -v[92:93]
	v_fma_f64 v[104:105], s[12:13], v[96:97], v[18:19]
	v_fmac_f64_e32 v[18:19], s[18:19], v[96:97]
	v_add_f64 v[82:83], v[82:83], v[88:89]
	v_fmac_f64_e32 v[104:105], s[20:21], v[94:95]
	v_fmac_f64_e32 v[18:19], s[14:15], v[94:95]
	;; [unrolled: 1-line block ×4, first 2 shown]
	v_add_f64 v[82:83], v[74:75], -v[76:77]
	v_add_f64 v[88:89], v[80:81], -v[78:79]
	v_add_f64 v[82:83], v[82:83], v[88:89]
	v_add_f64 v[88:89], v[76:77], v[78:79]
	v_fma_f64 v[88:89], -0.5, v[88:89], v[12:13]
	v_add_f64 v[90:91], v[66:67], -v[72:73]
	v_add_f64 v[94:95], v[68:69], -v[70:71]
	v_fma_f64 v[92:93], s[12:13], v[90:91], v[88:89]
	v_fmac_f64_e32 v[88:89], s[18:19], v[90:91]
	v_fmac_f64_e32 v[92:93], s[14:15], v[94:95]
	;; [unrolled: 1-line block ×3, first 2 shown]
	v_add_f64 v[96:97], v[74:75], v[80:81]
	v_fmac_f64_e32 v[92:93], s[16:17], v[82:83]
	v_fmac_f64_e32 v[88:89], s[16:17], v[82:83]
	v_add_f64 v[82:83], v[12:13], v[74:75]
	v_fmac_f64_e32 v[12:13], -0.5, v[96:97]
	v_add_f64 v[96:97], v[76:77], -v[74:75]
	v_add_f64 v[98:99], v[78:79], -v[80:81]
	v_add_f64 v[98:99], v[96:97], v[98:99]
	v_fma_f64 v[96:97], s[18:19], v[94:95], v[12:13]
	v_fmac_f64_e32 v[12:13], s[12:13], v[94:95]
	v_fmac_f64_e32 v[96:97], s[14:15], v[90:91]
	;; [unrolled: 1-line block ×3, first 2 shown]
	v_add_f64 v[82:83], v[82:83], v[76:77]
	v_add_f64 v[90:91], v[14:15], v[66:67]
	;; [unrolled: 1-line block ×8, first 2 shown]
	v_fma_f64 v[90:91], -0.5, v[82:83], v[14:15]
	v_add_f64 v[74:75], v[74:75], -v[80:81]
	v_add_f64 v[76:77], v[76:77], -v[78:79]
	;; [unrolled: 1-line block ×4, first 2 shown]
	v_fma_f64 v[94:95], s[18:19], v[74:75], v[90:91]
	v_fmac_f64_e32 v[90:91], s[12:13], v[74:75]
	v_add_f64 v[78:79], v[78:79], v[80:81]
	v_fmac_f64_e32 v[94:95], s[20:21], v[76:77]
	v_fmac_f64_e32 v[90:91], s[14:15], v[76:77]
	;; [unrolled: 1-line block ×4, first 2 shown]
	v_add_f64 v[78:79], v[66:67], v[72:73]
	v_fmac_f64_e32 v[14:15], -0.5, v[78:79]
	v_fmac_f64_e32 v[96:97], s[16:17], v[98:99]
	v_fmac_f64_e32 v[12:13], s[16:17], v[98:99]
	v_add_f64 v[66:67], v[68:69], -v[66:67]
	v_add_f64 v[68:69], v[70:71], -v[72:73]
	v_fma_f64 v[98:99], s[12:13], v[76:77], v[14:15]
	v_fmac_f64_e32 v[14:15], s[18:19], v[76:77]
	v_add_f64 v[66:67], v[66:67], v[68:69]
	v_fmac_f64_e32 v[98:99], s[20:21], v[74:75]
	v_fmac_f64_e32 v[14:15], s[14:15], v[74:75]
	;; [unrolled: 1-line block ×4, first 2 shown]
	v_add_f64 v[66:67], v[58:59], -v[60:61]
	v_add_f64 v[68:69], v[64:65], -v[62:63]
	v_add_f64 v[68:69], v[66:67], v[68:69]
	v_add_f64 v[66:67], v[60:61], v[62:63]
	v_fma_f64 v[66:67], -0.5, v[66:67], v[8:9]
	v_add_f64 v[72:73], v[50:51], -v[56:57]
	v_add_f64 v[76:77], v[52:53], -v[54:55]
	v_fma_f64 v[70:71], s[12:13], v[72:73], v[66:67]
	v_fmac_f64_e32 v[66:67], s[18:19], v[72:73]
	v_fmac_f64_e32 v[70:71], s[14:15], v[76:77]
	;; [unrolled: 1-line block ×3, first 2 shown]
	v_add_f64 v[74:75], v[58:59], v[64:65]
	v_fmac_f64_e32 v[70:71], s[16:17], v[68:69]
	v_fmac_f64_e32 v[66:67], s[16:17], v[68:69]
	v_add_f64 v[68:69], v[8:9], v[58:59]
	v_fmac_f64_e32 v[8:9], -0.5, v[74:75]
	v_add_f64 v[74:75], v[60:61], -v[58:59]
	v_add_f64 v[78:79], v[62:63], -v[64:65]
	v_add_f64 v[78:79], v[74:75], v[78:79]
	v_fma_f64 v[74:75], s[18:19], v[76:77], v[8:9]
	v_fmac_f64_e32 v[8:9], s[12:13], v[76:77]
	v_add_f64 v[68:69], v[68:69], v[60:61]
	v_fmac_f64_e32 v[74:75], s[14:15], v[72:73]
	v_fmac_f64_e32 v[8:9], s[20:21], v[72:73]
	v_add_f64 v[68:69], v[68:69], v[62:63]
	v_add_f64 v[72:73], v[10:11], v[50:51]
	v_fmac_f64_e32 v[74:75], s[16:17], v[78:79]
	v_fmac_f64_e32 v[8:9], s[16:17], v[78:79]
	v_add_f64 v[72:73], v[72:73], v[52:53]
	v_add_f64 v[78:79], v[68:69], v[64:65]
	;; [unrolled: 1-line block ×4, first 2 shown]
	v_fma_f64 v[68:69], -0.5, v[68:69], v[10:11]
	v_add_f64 v[58:59], v[58:59], -v[64:65]
	v_add_f64 v[80:81], v[72:73], v[56:57]
	v_add_f64 v[60:61], v[60:61], -v[62:63]
	v_add_f64 v[62:63], v[50:51], -v[52:53]
	;; [unrolled: 1-line block ×3, first 2 shown]
	v_fma_f64 v[72:73], s[18:19], v[58:59], v[68:69]
	v_fmac_f64_e32 v[68:69], s[12:13], v[58:59]
	v_add_f64 v[62:63], v[62:63], v[64:65]
	v_fmac_f64_e32 v[72:73], s[20:21], v[60:61]
	v_fmac_f64_e32 v[68:69], s[14:15], v[60:61]
	;; [unrolled: 1-line block ×4, first 2 shown]
	v_add_f64 v[62:63], v[50:51], v[56:57]
	v_fmac_f64_e32 v[10:11], -0.5, v[62:63]
	v_add_f64 v[50:51], v[52:53], -v[50:51]
	v_add_f64 v[52:53], v[54:55], -v[56:57]
	v_fma_f64 v[76:77], s[12:13], v[60:61], v[10:11]
	v_fmac_f64_e32 v[10:11], s[18:19], v[60:61]
	v_add_f64 v[50:51], v[50:51], v[52:53]
	v_fmac_f64_e32 v[76:77], s[20:21], v[58:59]
	v_fmac_f64_e32 v[10:11], s[14:15], v[58:59]
	;; [unrolled: 1-line block ×4, first 2 shown]
	v_add_f64 v[50:51], v[40:41], -v[44:45]
	v_add_f64 v[52:53], v[48:49], -v[46:47]
	v_add_f64 v[52:53], v[50:51], v[52:53]
	v_add_f64 v[50:51], v[44:45], v[46:47]
	v_fma_f64 v[50:51], -0.5, v[50:51], v[20:21]
	v_add_f64 v[56:57], v[34:35], -v[42:43]
	v_add_f64 v[60:61], v[36:37], -v[38:39]
	v_fma_f64 v[54:55], s[12:13], v[56:57], v[50:51]
	v_fmac_f64_e32 v[50:51], s[18:19], v[56:57]
	v_fmac_f64_e32 v[54:55], s[14:15], v[60:61]
	;; [unrolled: 1-line block ×3, first 2 shown]
	v_add_f64 v[58:59], v[40:41], v[48:49]
	v_fmac_f64_e32 v[54:55], s[16:17], v[52:53]
	v_fmac_f64_e32 v[50:51], s[16:17], v[52:53]
	v_add_f64 v[52:53], v[20:21], v[40:41]
	v_fmac_f64_e32 v[20:21], -0.5, v[58:59]
	v_add_f64 v[58:59], v[44:45], -v[40:41]
	v_add_f64 v[62:63], v[46:47], -v[48:49]
	v_add_f64 v[62:63], v[58:59], v[62:63]
	v_fma_f64 v[58:59], s[18:19], v[60:61], v[20:21]
	v_fmac_f64_e32 v[20:21], s[12:13], v[60:61]
	v_add_f64 v[52:53], v[52:53], v[44:45]
	v_fmac_f64_e32 v[58:59], s[14:15], v[56:57]
	v_fmac_f64_e32 v[20:21], s[20:21], v[56:57]
	v_add_f64 v[52:53], v[52:53], v[46:47]
	v_add_f64 v[56:57], v[22:23], v[34:35]
	v_fmac_f64_e32 v[58:59], s[16:17], v[62:63]
	v_fmac_f64_e32 v[20:21], s[16:17], v[62:63]
	v_add_f64 v[56:57], v[56:57], v[36:37]
	v_add_f64 v[62:63], v[52:53], v[48:49]
	;; [unrolled: 1-line block ×4, first 2 shown]
	v_fma_f64 v[52:53], -0.5, v[52:53], v[22:23]
	v_add_f64 v[40:41], v[40:41], -v[48:49]
	v_add_f64 v[64:65], v[56:57], v[42:43]
	v_add_f64 v[44:45], v[44:45], -v[46:47]
	v_add_f64 v[46:47], v[34:35], -v[36:37]
	;; [unrolled: 1-line block ×3, first 2 shown]
	v_fma_f64 v[56:57], s[18:19], v[40:41], v[52:53]
	v_fmac_f64_e32 v[52:53], s[12:13], v[40:41]
	v_add_f64 v[46:47], v[46:47], v[48:49]
	v_fmac_f64_e32 v[56:57], s[20:21], v[44:45]
	v_fmac_f64_e32 v[52:53], s[14:15], v[44:45]
	ds_write_b128 v208, v[28:31] offset:5280
	ds_write_b128 v208, v[102:105] offset:6160
	;; [unrolled: 1-line block ×4, first 2 shown]
	v_mov_b32_e32 v16, 4
	v_fmac_f64_e32 v[56:57], s[16:17], v[46:47]
	v_fmac_f64_e32 v[52:53], s[16:17], v[46:47]
	v_add_f64 v[46:47], v[34:35], v[42:43]
	v_lshlrev_b32_sdwa v17, v16, v85 dst_sel:DWORD dst_unused:UNUSED_PAD src0_sel:DWORD src1_sel:BYTE_0
	v_fmac_f64_e32 v[22:23], -0.5, v[46:47]
	ds_write_b128 v17, v[106:109] offset:8800
	ds_write_b128 v17, v[92:95] offset:9680
	;; [unrolled: 1-line block ×4, first 2 shown]
	v_lshlrev_b32_sdwa v12, v16, v87 dst_sel:DWORD dst_unused:UNUSED_PAD src0_sel:DWORD src1_sel:BYTE_0
	v_add_f64 v[34:35], v[36:37], -v[34:35]
	v_add_f64 v[36:37], v[38:39], -v[42:43]
	v_fma_f64 v[60:61], s[12:13], v[44:45], v[22:23]
	v_fmac_f64_e32 v[22:23], s[18:19], v[44:45]
	ds_write_b128 v17, v[88:91] offset:12320
	ds_write_b128 v12, v[78:81] offset:13200
	;; [unrolled: 1-line block ×5, first 2 shown]
	v_add_co_u32_e64 v8, s[0:1], s24, v32
	v_add_f64 v[34:35], v[34:35], v[36:37]
	v_fmac_f64_e32 v[60:61], s[20:21], v[40:41]
	v_fmac_f64_e32 v[22:23], s[14:15], v[40:41]
	v_addc_co_u32_e64 v9, s[0:1], 0, v33, s[0:1]
	v_fmac_f64_e32 v[60:61], s[16:17], v[34:35]
	v_fmac_f64_e32 v[22:23], s[16:17], v[34:35]
	v_accvgpr_write_b32 a243, v12
	ds_write_b128 v12, v[66:69] offset:16720
	ds_write_b128 v209, v[62:65] offset:17600
	;; [unrolled: 1-line block ×6, first 2 shown]
	s_waitcnt lgkmcnt(0)
	; wave barrier
	s_waitcnt lgkmcnt(0)
	global_load_dwordx4 v[12:15], v[8:9], off offset:128
	v_lshl_add_u64 v[24:25], s[8:9], 0, v[148:149]
	v_lshl_add_u64 v[8:9], v[32:33], 0, s[22:23]
	v_add_co_u32_e64 v26, s[0:1], s24, v24
	v_accvgpr_write_b32 a242, v17
	global_load_dwordx4 v[20:23], v[8:9], off offset:16
	global_load_dwordx4 v[16:19], v[8:9], off offset:32
	s_nop 0
	global_load_dwordx4 v[8:11], v[8:9], off offset:48
	v_addc_co_u32_e64 v27, s[0:1], 0, v25, s[0:1]
	global_load_dwordx4 v[28:31], v[26:27], off offset:128
	v_lshlrev_b32_e32 v148, 6, v136
	v_lshl_add_u64 v[40:41], s[8:9], 0, v[148:149]
	v_lshl_add_u64 v[24:25], v[24:25], 0, s[22:23]
	v_add_co_u32_e64 v42, s[0:1], s24, v40
	global_load_dwordx4 v[36:39], v[24:25], off offset:16
	global_load_dwordx4 v[32:35], v[24:25], off offset:32
	s_nop 0
	global_load_dwordx4 v[24:27], v[24:25], off offset:48
	v_addc_co_u32_e64 v43, s[0:1], 0, v41, s[0:1]
	global_load_dwordx4 v[44:47], v[42:43], off offset:128
	v_lshl_add_u64 v[88:89], v[40:41], 0, s[22:23]
	global_load_dwordx4 v[40:43], v[88:89], off offset:16
	ds_read_b128 v[48:51], v208 offset:4400
	ds_read_b128 v[52:55], v208 offset:8800
	;; [unrolled: 1-line block ×9, first 2 shown]
	v_lshlrev_b32_e32 v148, 6, v84
	ds_read_b128 v[116:119], v208 offset:21120
	s_waitcnt vmcnt(9) lgkmcnt(9)
	v_mul_f64 v[90:91], v[50:51], v[14:15]
	v_fma_f64 v[128:129], v[48:49], v[12:13], -v[90:91]
	v_mul_f64 v[130:131], v[48:49], v[14:15]
	v_fmac_f64_e32 v[130:131], v[50:51], v[12:13]
	s_waitcnt vmcnt(8) lgkmcnt(8)
	v_mul_f64 v[48:49], v[54:55], v[22:23]
	v_fma_f64 v[132:133], v[52:53], v[20:21], -v[48:49]
	s_waitcnt vmcnt(7) lgkmcnt(7)
	v_mul_f64 v[48:49], v[58:59], v[18:19]
	v_fma_f64 v[136:137], v[56:57], v[16:17], -v[48:49]
	;; [unrolled: 3-line block ×4, first 2 shown]
	v_mul_f64 v[134:135], v[52:53], v[22:23]
	s_waitcnt vmcnt(4) lgkmcnt(4)
	v_mul_f64 v[48:49], v[70:71], v[38:39]
	v_fma_f64 v[150:151], v[68:69], v[36:37], -v[48:49]
	s_waitcnt vmcnt(3) lgkmcnt(3)
	v_mul_f64 v[48:49], v[74:75], v[34:35]
	v_fma_f64 v[154:155], v[72:73], v[32:33], -v[48:49]
	;; [unrolled: 3-line block ×4, first 2 shown]
	ds_read_b128 v[48:51], v208 offset:10560
	v_fmac_f64_e32 v[134:135], v[54:55], v[20:21]
	v_mul_f64 v[138:139], v[56:57], v[18:19]
	v_fmac_f64_e32 v[138:139], v[58:59], v[16:17]
	v_mul_f64 v[142:143], v[60:61], v[10:11]
	s_waitcnt vmcnt(0) lgkmcnt(0)
	v_mul_f64 v[52:53], v[50:51], v[42:43]
	v_mul_f64 v[176:177], v[48:49], v[42:43]
	v_fma_f64 v[166:167], v[48:49], v[40:41], -v[52:53]
	v_fmac_f64_e32 v[176:177], v[50:51], v[40:41]
	global_load_dwordx4 v[48:51], v[88:89], off offset:32
	ds_read_b128 v[52:55], v208 offset:14960
	v_mul_f64 v[146:147], v[64:65], v[30:31]
	v_lshl_add_u64 v[64:65], s[8:9], 0, v[148:149]
	v_fmac_f64_e32 v[142:143], v[62:63], v[8:9]
	v_fmac_f64_e32 v[146:147], v[66:67], v[28:29]
	v_mul_f64 v[156:157], v[72:73], v[34:35]
	v_lshl_add_u64 v[72:73], v[64:65], 0, s[22:23]
	v_mul_f64 v[152:153], v[68:69], v[38:39]
	v_fmac_f64_e32 v[152:153], v[70:71], v[36:37]
	v_fmac_f64_e32 v[156:157], v[74:75], v[32:33]
	v_lshlrev_b32_e32 v148, 6, v86
	v_mul_f64 v[160:161], v[76:77], v[26:27]
	v_mul_f64 v[164:165], v[80:81], v[46:47]
	v_lshl_add_u64 v[80:81], s[8:9], 0, v[148:149]
	v_fmac_f64_e32 v[160:161], v[78:79], v[24:25]
	v_fmac_f64_e32 v[164:165], v[82:83], v[44:45]
	v_lshl_add_u64 v[104:105], v[80:81], 0, s[22:23]
	v_add_f64 v[124:125], v[130:131], -v[134:135]
	v_add_f64 v[126:127], v[142:143], -v[138:139]
	;; [unrolled: 1-line block ×4, first 2 shown]
	v_add_f64 v[200:201], v[124:125], v[126:127]
	v_add_f64 v[204:205], v[134:135], -v[138:139]
	v_add_f64 v[212:213], v[132:133], -v[136:137]
	s_add_u32 s8, s2, 0x55f0
	s_addc_u32 s9, s3, 0
	v_lshlrev_b32_e32 v148, 4, v250
	v_lshl_add_u64 v[216:217], s[8:9], 0, v[148:149]
	s_waitcnt vmcnt(0) lgkmcnt(0)
	v_mul_f64 v[56:57], v[54:55], v[50:51]
	v_mul_f64 v[184:185], v[52:53], v[50:51]
	v_fma_f64 v[178:179], v[52:53], v[48:49], -v[56:57]
	v_fmac_f64_e32 v[184:185], v[54:55], v[48:49]
	global_load_dwordx4 v[52:55], v[88:89], off offset:48
	ds_read_b128 v[56:59], v208 offset:19360
	s_waitcnt vmcnt(0) lgkmcnt(0)
	v_mul_f64 v[60:61], v[58:59], v[54:55]
	v_fma_f64 v[186:187], v[56:57], v[52:53], -v[60:61]
	v_mul_f64 v[188:189], v[56:57], v[54:55]
	v_add_co_u32_e64 v56, s[0:1], s24, v64
	v_fmac_f64_e32 v[188:189], v[58:59], v[52:53]
	s_nop 0
	v_addc_co_u32_e64 v57, s[0:1], 0, v65, s[0:1]
	global_load_dwordx4 v[56:59], v[56:57], off offset:128
	ds_read_b128 v[60:63], v208 offset:7040
	s_waitcnt vmcnt(0) lgkmcnt(0)
	v_mul_f64 v[66:67], v[62:63], v[58:59]
	v_mul_f64 v[88:89], v[60:61], v[58:59]
	v_fma_f64 v[90:91], v[60:61], v[56:57], -v[66:67]
	v_fmac_f64_e32 v[88:89], v[62:63], v[56:57]
	global_load_dwordx4 v[60:63], v[72:73], off offset:16
	ds_read_b128 v[64:67], v208 offset:11440
	s_waitcnt vmcnt(0) lgkmcnt(0)
	v_mul_f64 v[68:69], v[66:67], v[62:63]
	v_mul_f64 v[92:93], v[64:65], v[62:63]
	v_fma_f64 v[94:95], v[64:65], v[60:61], -v[68:69]
	v_fmac_f64_e32 v[92:93], v[66:67], v[60:61]
	;; [unrolled: 7-line block ×3, first 2 shown]
	global_load_dwordx4 v[68:71], v[72:73], off offset:48
	ds_read_b128 v[72:75], v208 offset:20240
	s_waitcnt vmcnt(0) lgkmcnt(0)
	v_mul_f64 v[76:77], v[74:75], v[70:71]
	v_fma_f64 v[190:191], v[72:73], v[68:69], -v[76:77]
	v_mul_f64 v[196:197], v[72:73], v[70:71]
	v_add_co_u32_e64 v72, s[0:1], s24, v80
	v_fmac_f64_e32 v[196:197], v[74:75], v[68:69]
	s_nop 0
	v_addc_co_u32_e64 v73, s[0:1], 0, v81, s[0:1]
	global_load_dwordx4 v[72:75], v[72:73], off offset:128
	ds_read_b128 v[76:79], v208 offset:7920
	v_add_co_u32_e64 v214, s[0:1], s24, v216
	s_waitcnt vmcnt(0) lgkmcnt(0)
	v_mul_f64 v[82:83], v[78:79], v[74:75]
	v_mul_f64 v[98:99], v[76:77], v[74:75]
	v_fma_f64 v[96:97], v[76:77], v[72:73], -v[82:83]
	v_fmac_f64_e32 v[98:99], v[78:79], v[72:73]
	global_load_dwordx4 v[76:79], v[104:105], off offset:16
	ds_read_b128 v[80:83], v208 offset:12320
	v_addc_co_u32_e64 v215, s[0:1], 0, v217, s[0:1]
	s_movk_i32 s0, 0x2000
	s_waitcnt vmcnt(0) lgkmcnt(0)
	v_mul_f64 v[84:85], v[82:83], v[78:79]
	v_mul_f64 v[100:101], v[80:81], v[78:79]
	v_fma_f64 v[106:107], v[80:81], v[76:77], -v[84:85]
	v_fmac_f64_e32 v[100:101], v[82:83], v[76:77]
	global_load_dwordx4 v[80:83], v[104:105], off offset:32
	ds_read_b128 v[84:87], v208 offset:16720
	s_waitcnt vmcnt(0) lgkmcnt(0)
	v_mul_f64 v[102:103], v[86:87], v[82:83]
	v_fma_f64 v[108:109], v[84:85], v[80:81], -v[102:103]
	v_mul_f64 v[102:103], v[84:85], v[82:83]
	v_fmac_f64_e32 v[102:103], v[86:87], v[80:81]
	global_load_dwordx4 v[84:87], v[104:105], off offset:48
	s_waitcnt vmcnt(0)
	v_mul_f64 v[104:105], v[118:119], v[86:87]
	v_fma_f64 v[110:111], v[116:117], v[84:85], -v[104:105]
	v_mul_f64 v[104:105], v[116:117], v[86:87]
	v_fmac_f64_e32 v[104:105], v[118:119], v[84:85]
	ds_read_b128 v[116:119], v208
	s_waitcnt lgkmcnt(0)
	v_add_f64 v[120:121], v[116:117], v[128:129]
	v_add_f64 v[122:123], v[118:119], v[130:131]
	;; [unrolled: 1-line block ×8, first 2 shown]
	ds_write_b128 v208, v[120:123]
	v_add_f64 v[120:121], v[128:129], -v[132:133]
	v_add_f64 v[122:123], v[140:141], -v[136:137]
	v_add_f64 v[198:199], v[120:121], v[122:123]
	v_add_f64 v[120:121], v[132:133], v[136:137]
	;; [unrolled: 1-line block ×3, first 2 shown]
	v_fma_f64 v[120:121], -0.5, v[120:121], v[116:117]
	v_fma_f64 v[122:123], -0.5, v[122:123], v[118:119]
	v_fma_f64 v[124:125], s[12:13], v[202:203], v[120:121]
	v_fma_f64 v[126:127], s[18:19], v[206:207], v[122:123]
	v_fmac_f64_e32 v[124:125], s[14:15], v[204:205]
	v_fmac_f64_e32 v[126:127], s[20:21], v[212:213]
	v_fmac_f64_e32 v[124:125], s[16:17], v[198:199]
	v_fmac_f64_e32 v[126:127], s[16:17], v[200:201]
	ds_write_b128 v208, v[124:127] offset:4400
	v_add_f64 v[124:125], v[128:129], v[140:141]
	v_fmac_f64_e32 v[116:117], -0.5, v[124:125]
	v_add_f64 v[124:125], v[132:133], -v[128:129]
	v_add_f64 v[126:127], v[136:137], -v[140:141]
	v_add_f64 v[128:129], v[124:125], v[126:127]
	v_add_f64 v[124:125], v[130:131], v[142:143]
	v_fmac_f64_e32 v[118:119], -0.5, v[124:125]
	v_add_f64 v[124:125], v[134:135], -v[130:131]
	v_add_f64 v[126:127], v[138:139], -v[142:143]
	v_add_f64 v[130:131], v[124:125], v[126:127]
	v_fma_f64 v[124:125], s[18:19], v[204:205], v[116:117]
	v_fma_f64 v[126:127], s[12:13], v[212:213], v[118:119]
	v_fmac_f64_e32 v[116:117], s[12:13], v[204:205]
	v_fmac_f64_e32 v[118:119], s[18:19], v[212:213]
	v_fmac_f64_e32 v[116:117], s[20:21], v[202:203]
	v_fmac_f64_e32 v[118:119], s[14:15], v[206:207]
	v_fmac_f64_e32 v[116:117], s[16:17], v[128:129]
	v_fmac_f64_e32 v[118:119], s[16:17], v[130:131]
	ds_write_b128 v208, v[116:119] offset:13200
	ds_read_b128 v[116:119], v208 offset:880
	v_fmac_f64_e32 v[120:121], s[18:19], v[202:203]
	v_fmac_f64_e32 v[122:123], s[12:13], v[206:207]
	v_fmac_f64_e32 v[120:121], s[20:21], v[204:205]
	v_fmac_f64_e32 v[122:123], s[14:15], v[212:213]
	v_fmac_f64_e32 v[120:121], s[16:17], v[198:199]
	v_fmac_f64_e32 v[122:123], s[16:17], v[200:201]
	ds_write_b128 v208, v[120:123] offset:17600
	s_waitcnt lgkmcnt(1)
	v_add_f64 v[120:121], v[116:117], v[144:145]
	v_add_f64 v[122:123], v[118:119], v[146:147]
	v_add_f64 v[120:121], v[120:121], v[150:151]
	v_add_f64 v[122:123], v[122:123], v[152:153]
	v_add_f64 v[120:121], v[120:121], v[154:155]
	v_add_f64 v[122:123], v[122:123], v[156:157]
	v_add_f64 v[120:121], v[120:121], v[158:159]
	v_add_f64 v[122:123], v[122:123], v[160:161]
	v_fmac_f64_e32 v[124:125], s[14:15], v[202:203]
	v_fmac_f64_e32 v[126:127], s[20:21], v[206:207]
	ds_write_b128 v208, v[120:123] offset:880
	v_add_f64 v[120:121], v[144:145], -v[150:151]
	v_add_f64 v[122:123], v[158:159], -v[154:155]
	v_fmac_f64_e32 v[124:125], s[16:17], v[128:129]
	v_fmac_f64_e32 v[126:127], s[16:17], v[130:131]
	v_add_f64 v[128:129], v[120:121], v[122:123]
	v_add_f64 v[120:121], v[150:151], v[154:155]
	v_add_f64 v[122:123], v[152:153], v[156:157]
	ds_write_b128 v208, v[124:127] offset:8800
	v_fma_f64 v[120:121], -0.5, v[120:121], v[116:117]
	v_fma_f64 v[122:123], -0.5, v[122:123], v[118:119]
	v_add_f64 v[124:125], v[146:147], -v[152:153]
	v_add_f64 v[126:127], v[160:161], -v[156:157]
	v_add_f64 v[132:133], v[146:147], -v[160:161]
	v_add_f64 v[136:137], v[144:145], -v[158:159]
	v_add_f64 v[130:131], v[124:125], v[126:127]
	v_add_f64 v[134:135], v[152:153], -v[156:157]
	v_fma_f64 v[124:125], s[12:13], v[132:133], v[120:121]
	v_fma_f64 v[126:127], s[18:19], v[136:137], v[122:123]
	v_add_f64 v[138:139], v[150:151], -v[154:155]
	v_fmac_f64_e32 v[124:125], s[14:15], v[134:135]
	v_fmac_f64_e32 v[126:127], s[20:21], v[138:139]
	v_fmac_f64_e32 v[124:125], s[16:17], v[128:129]
	v_fmac_f64_e32 v[126:127], s[16:17], v[130:131]
	ds_write_b128 v208, v[124:127] offset:5280
	v_add_f64 v[124:125], v[144:145], v[158:159]
	v_fmac_f64_e32 v[116:117], -0.5, v[124:125]
	v_add_f64 v[124:125], v[150:151], -v[144:145]
	v_add_f64 v[126:127], v[154:155], -v[158:159]
	v_add_f64 v[140:141], v[124:125], v[126:127]
	v_add_f64 v[124:125], v[146:147], v[160:161]
	v_fmac_f64_e32 v[118:119], -0.5, v[124:125]
	v_add_f64 v[124:125], v[152:153], -v[146:147]
	v_add_f64 v[126:127], v[156:157], -v[160:161]
	v_add_f64 v[142:143], v[124:125], v[126:127]
	v_fma_f64 v[124:125], s[18:19], v[134:135], v[116:117]
	v_fma_f64 v[126:127], s[12:13], v[138:139], v[118:119]
	v_fmac_f64_e32 v[116:117], s[12:13], v[134:135]
	v_fmac_f64_e32 v[118:119], s[18:19], v[138:139]
	v_fmac_f64_e32 v[116:117], s[20:21], v[132:133]
	v_fmac_f64_e32 v[118:119], s[14:15], v[136:137]
	v_fmac_f64_e32 v[116:117], s[16:17], v[140:141]
	v_fmac_f64_e32 v[118:119], s[16:17], v[142:143]
	ds_write_b128 v208, v[116:119] offset:14080
	ds_read_b128 v[116:119], v208 offset:1760
	v_fmac_f64_e32 v[120:121], s[18:19], v[132:133]
	v_fmac_f64_e32 v[122:123], s[12:13], v[136:137]
	v_fmac_f64_e32 v[120:121], s[20:21], v[134:135]
	v_fmac_f64_e32 v[122:123], s[14:15], v[138:139]
	v_fmac_f64_e32 v[120:121], s[16:17], v[128:129]
	v_fmac_f64_e32 v[122:123], s[16:17], v[130:131]
	ds_write_b128 v208, v[120:123] offset:18480
	s_waitcnt lgkmcnt(1)
	v_add_f64 v[120:121], v[116:117], v[162:163]
	v_add_f64 v[122:123], v[118:119], v[164:165]
	v_add_f64 v[120:121], v[120:121], v[166:167]
	v_add_f64 v[122:123], v[122:123], v[176:177]
	v_add_f64 v[120:121], v[120:121], v[178:179]
	v_add_f64 v[122:123], v[122:123], v[184:185]
	v_add_f64 v[120:121], v[120:121], v[186:187]
	v_add_f64 v[122:123], v[122:123], v[188:189]
	v_fmac_f64_e32 v[124:125], s[14:15], v[132:133]
	v_fmac_f64_e32 v[126:127], s[20:21], v[136:137]
	ds_write_b128 v208, v[120:123] offset:1760
	v_add_f64 v[120:121], v[162:163], -v[166:167]
	v_add_f64 v[122:123], v[186:187], -v[178:179]
	v_fmac_f64_e32 v[124:125], s[16:17], v[140:141]
	v_fmac_f64_e32 v[126:127], s[16:17], v[142:143]
	v_add_f64 v[128:129], v[120:121], v[122:123]
	v_add_f64 v[120:121], v[166:167], v[178:179]
	v_add_f64 v[122:123], v[176:177], v[184:185]
	ds_write_b128 v208, v[124:127] offset:9680
	v_fma_f64 v[120:121], -0.5, v[120:121], v[116:117]
	v_fma_f64 v[122:123], -0.5, v[122:123], v[118:119]
	v_add_f64 v[124:125], v[164:165], -v[176:177]
	v_add_f64 v[126:127], v[188:189], -v[184:185]
	v_add_f64 v[132:133], v[164:165], -v[188:189]
	v_add_f64 v[136:137], v[162:163], -v[186:187]
	v_add_f64 v[130:131], v[124:125], v[126:127]
	v_add_f64 v[134:135], v[176:177], -v[184:185]
	v_fma_f64 v[124:125], s[12:13], v[132:133], v[120:121]
	v_fma_f64 v[126:127], s[18:19], v[136:137], v[122:123]
	v_add_f64 v[138:139], v[166:167], -v[178:179]
	;; [unrolled: 63-line block ×3, first 2 shown]
	v_fmac_f64_e32 v[124:125], s[14:15], v[134:135]
	v_fmac_f64_e32 v[126:127], s[20:21], v[138:139]
	;; [unrolled: 1-line block ×4, first 2 shown]
	ds_write_b128 v208, v[124:127] offset:7040
	v_add_f64 v[124:125], v[90:91], v[190:191]
	v_add_f64 v[90:91], v[94:95], -v[90:91]
	v_add_f64 v[94:95], v[114:115], -v[190:191]
	v_add_f64 v[94:95], v[90:91], v[94:95]
	v_add_f64 v[90:91], v[88:89], v[196:197]
	v_fmac_f64_e32 v[116:117], -0.5, v[124:125]
	v_fmac_f64_e32 v[118:119], -0.5, v[90:91]
	v_add_f64 v[88:89], v[92:93], -v[88:89]
	v_add_f64 v[90:91], v[112:113], -v[196:197]
	v_add_f64 v[92:93], v[88:89], v[90:91]
	v_fma_f64 v[88:89], s[18:19], v[134:135], v[116:117]
	v_fma_f64 v[90:91], s[12:13], v[138:139], v[118:119]
	v_fmac_f64_e32 v[88:89], s[14:15], v[132:133]
	v_fmac_f64_e32 v[90:91], s[20:21], v[136:137]
	;; [unrolled: 1-line block ×4, first 2 shown]
	ds_write_b128 v208, v[88:91] offset:11440
	ds_read_b128 v[88:91], v208 offset:3520
	v_fmac_f64_e32 v[116:117], s[12:13], v[134:135]
	v_fmac_f64_e32 v[118:119], s[18:19], v[138:139]
	;; [unrolled: 1-line block ×6, first 2 shown]
	s_waitcnt lgkmcnt(0)
	v_add_f64 v[92:93], v[88:89], v[96:97]
	v_add_f64 v[94:95], v[90:91], v[98:99]
	;; [unrolled: 1-line block ×6, first 2 shown]
	v_fmac_f64_e32 v[120:121], s[18:19], v[132:133]
	v_fmac_f64_e32 v[122:123], s[12:13], v[136:137]
	v_add_f64 v[92:93], v[92:93], v[110:111]
	v_add_f64 v[94:95], v[94:95], v[104:105]
	v_fmac_f64_e32 v[120:121], s[20:21], v[134:135]
	v_fmac_f64_e32 v[122:123], s[14:15], v[138:139]
	ds_write_b128 v208, v[92:95] offset:3520
	v_add_f64 v[92:93], v[96:97], -v[106:107]
	v_add_f64 v[94:95], v[110:111], -v[108:109]
	ds_write_b128 v208, v[116:119] offset:15840
	v_fmac_f64_e32 v[120:121], s[16:17], v[128:129]
	v_fmac_f64_e32 v[122:123], s[16:17], v[130:131]
	v_add_f64 v[116:117], v[92:93], v[94:95]
	v_add_f64 v[92:93], v[106:107], v[108:109]
	v_add_f64 v[94:95], v[100:101], v[102:103]
	ds_write_b128 v208, v[120:123] offset:20240
	v_fma_f64 v[92:93], -0.5, v[92:93], v[88:89]
	v_fma_f64 v[94:95], -0.5, v[94:95], v[90:91]
	v_add_f64 v[112:113], v[98:99], -v[100:101]
	v_add_f64 v[114:115], v[104:105], -v[102:103]
	v_add_f64 v[120:121], v[98:99], -v[104:105]
	v_add_f64 v[124:125], v[96:97], -v[110:111]
	v_add_f64 v[118:119], v[112:113], v[114:115]
	v_add_f64 v[122:123], v[100:101], -v[102:103]
	v_fma_f64 v[112:113], s[12:13], v[120:121], v[92:93]
	v_fma_f64 v[114:115], s[18:19], v[124:125], v[94:95]
	v_add_f64 v[126:127], v[106:107], -v[108:109]
	v_fmac_f64_e32 v[112:113], s[14:15], v[122:123]
	v_fmac_f64_e32 v[114:115], s[20:21], v[126:127]
	;; [unrolled: 1-line block ×4, first 2 shown]
	ds_write_b128 v208, v[112:115] offset:7920
	v_add_f64 v[112:113], v[96:97], v[110:111]
	v_fmac_f64_e32 v[88:89], -0.5, v[112:113]
	v_add_f64 v[96:97], v[106:107], -v[96:97]
	v_add_f64 v[106:107], v[108:109], -v[110:111]
	v_add_f64 v[106:107], v[96:97], v[106:107]
	v_fma_f64 v[96:97], s[18:19], v[122:123], v[88:89]
	v_fmac_f64_e32 v[88:89], s[12:13], v[122:123]
	v_fmac_f64_e32 v[96:97], s[14:15], v[120:121]
	;; [unrolled: 1-line block ×5, first 2 shown]
	v_add_f64 v[106:107], v[98:99], v[104:105]
	v_fmac_f64_e32 v[90:91], -0.5, v[106:107]
	v_add_f64 v[98:99], v[100:101], -v[98:99]
	v_add_f64 v[100:101], v[102:103], -v[104:105]
	v_add_f64 v[100:101], v[98:99], v[100:101]
	v_fma_f64 v[98:99], s[12:13], v[126:127], v[90:91]
	v_fmac_f64_e32 v[92:93], s[18:19], v[120:121]
	v_fmac_f64_e32 v[94:95], s[12:13], v[124:125]
	;; [unrolled: 1-line block ×11, first 2 shown]
	ds_write_b128 v208, v[96:99] offset:12320
	ds_write_b128 v208, v[88:91] offset:16720
	;; [unrolled: 1-line block ×3, first 2 shown]
	s_waitcnt lgkmcnt(0)
	; wave barrier
	s_waitcnt lgkmcnt(0)
	global_load_dwordx4 v[104:107], v148, s[8:9]
	ds_read_b128 v[108:111], v208
	ds_read_b128 v[154:157], v208 offset:880
	ds_read_b128 v[112:115], v208 offset:2000
	ds_read_b128 v[116:119], v208 offset:4000
	ds_read_b128 v[120:123], v208 offset:6000
	ds_read_b128 v[164:167], v208 offset:6880
	ds_read_b128 v[124:127], v208 offset:8000
	ds_read_b128 v[176:179], v208 offset:8880
	v_add_co_u32_e64 v212, s[0:1], s0, v216
	ds_read_b128 v[128:131], v208 offset:10000
	ds_read_b128 v[184:187], v208 offset:10880
	v_addc_co_u32_e64 v213, s[0:1], 0, v217, s[0:1]
	ds_read_b128 v[132:135], v208 offset:12000
	ds_read_b128 v[188:191], v208 offset:12880
	s_movk_i32 s0, 0x3000
	v_add_co_u32_e64 v206, s[0:1], s0, v216
	ds_read_b128 v[136:139], v208 offset:14000
	ds_read_b128 v[196:199], v208 offset:14880
	v_addc_co_u32_e64 v207, s[0:1], 0, v217, s[0:1]
	ds_read_b128 v[140:143], v208 offset:16000
	ds_read_b128 v[200:203], v208 offset:16880
	s_movk_i32 s0, 0x4000
	v_add_co_u32_e64 v204, s[0:1], s0, v216
	ds_read_b128 v[144:147], v208 offset:18000
	ds_read_b128 v[220:223], v208 offset:18880
	v_addc_co_u32_e64 v205, s[0:1], 0, v217, s[0:1]
	ds_read_b128 v[150:153], v208 offset:20000
	s_movk_i32 s0, 0x5000
	ds_read_b128 v[160:163], v208 offset:4880
	s_waitcnt vmcnt(0) lgkmcnt(14)
	v_mul_f64 v[100:101], v[110:111], v[106:107]
	v_mul_f64 v[102:103], v[108:109], v[106:107]
	v_fma_f64 v[100:101], v[108:109], v[104:105], -v[100:101]
	v_fmac_f64_e32 v[102:103], v[110:111], v[104:105]
	global_load_dwordx4 v[108:111], v148, s[8:9] offset:2000
	s_waitcnt vmcnt(0)
	v_mul_f64 v[104:105], v[114:115], v[110:111]
	v_mul_f64 v[106:107], v[112:113], v[110:111]
	v_fma_f64 v[104:105], v[112:113], v[108:109], -v[104:105]
	v_fmac_f64_e32 v[106:107], v[114:115], v[108:109]
	global_load_dwordx4 v[112:115], v148, s[8:9] offset:4000
	s_waitcnt vmcnt(0)
	v_mul_f64 v[108:109], v[118:119], v[114:115]
	v_mul_f64 v[110:111], v[116:117], v[114:115]
	v_fma_f64 v[108:109], v[116:117], v[112:113], -v[108:109]
	v_fmac_f64_e32 v[110:111], v[118:119], v[112:113]
	global_load_dwordx4 v[116:119], v[214:215], off offset:1904
	s_waitcnt vmcnt(0)
	v_mul_f64 v[112:113], v[122:123], v[118:119]
	v_mul_f64 v[114:115], v[120:121], v[118:119]
	v_fma_f64 v[112:113], v[120:121], v[116:117], -v[112:113]
	v_fmac_f64_e32 v[114:115], v[122:123], v[116:117]
	global_load_dwordx4 v[120:123], v[214:215], off offset:3904
	s_waitcnt vmcnt(0) lgkmcnt(13)
	v_mul_f64 v[116:117], v[126:127], v[122:123]
	v_mul_f64 v[118:119], v[124:125], v[122:123]
	v_fma_f64 v[116:117], v[124:125], v[120:121], -v[116:117]
	v_fmac_f64_e32 v[118:119], v[126:127], v[120:121]
	global_load_dwordx4 v[124:127], v[212:213], off offset:1808
	s_waitcnt vmcnt(0) lgkmcnt(11)
	;; [unrolled: 6-line block ×7, first 2 shown]
	v_mul_f64 v[140:141], v[152:153], v[146:147]
	v_mul_f64 v[142:143], v[150:151], v[146:147]
	v_fma_f64 v[140:141], v[150:151], v[144:145], -v[140:141]
	v_fmac_f64_e32 v[142:143], v[152:153], v[144:145]
	global_load_dwordx4 v[150:153], v148, s[8:9] offset:880
	s_waitcnt vmcnt(0)
	v_mul_f64 v[144:145], v[156:157], v[152:153]
	v_fma_f64 v[144:145], v[154:155], v[150:151], -v[144:145]
	v_mul_f64 v[146:147], v[154:155], v[152:153]
	global_load_dwordx4 v[152:155], v148, s[8:9] offset:2880
	v_fmac_f64_e32 v[146:147], v[156:157], v[150:151]
	ds_read_b128 v[156:159], v208 offset:2880
	s_waitcnt vmcnt(0) lgkmcnt(0)
	v_mul_f64 v[148:149], v[158:159], v[154:155]
	v_mul_f64 v[150:151], v[156:157], v[154:155]
	v_fma_f64 v[148:149], v[156:157], v[152:153], -v[148:149]
	v_fmac_f64_e32 v[150:151], v[158:159], v[152:153]
	global_load_dwordx4 v[156:159], v[214:215], off offset:784
	s_waitcnt vmcnt(0)
	v_mul_f64 v[152:153], v[162:163], v[158:159]
	v_mul_f64 v[154:155], v[160:161], v[158:159]
	v_fma_f64 v[152:153], v[160:161], v[156:157], -v[152:153]
	v_fmac_f64_e32 v[154:155], v[162:163], v[156:157]
	global_load_dwordx4 v[160:163], v[214:215], off offset:2784
	s_waitcnt vmcnt(0)
	;; [unrolled: 6-line block ×8, first 2 shown]
	v_mul_f64 v[196:197], v[222:223], v[202:203]
	v_mul_f64 v[198:199], v[220:221], v[202:203]
	v_fma_f64 v[196:197], v[220:221], v[200:201], -v[196:197]
	v_fmac_f64_e32 v[198:199], v[222:223], v[200:201]
	v_add_co_u32_e64 v200, s[0:1], s0, v216
	ds_read_b128 v[220:223], v208 offset:20880
	s_nop 0
	v_addc_co_u32_e64 v201, s[0:1], 0, v217, s[0:1]
	global_load_dwordx4 v[200:203], v[200:201], off offset:400
	s_waitcnt vmcnt(0) lgkmcnt(0)
	v_mul_f64 v[224:225], v[222:223], v[202:203]
	v_mul_f64 v[226:227], v[220:221], v[202:203]
	v_fma_f64 v[224:225], v[220:221], v[200:201], -v[224:225]
	v_fmac_f64_e32 v[226:227], v[222:223], v[200:201]
	ds_write_b128 v208, v[100:103]
	ds_write_b128 v208, v[104:107] offset:2000
	ds_write_b128 v208, v[108:111] offset:4000
	;; [unrolled: 1-line block ×21, first 2 shown]
	s_and_saveexec_b64 s[0:1], vcc
	s_cbranch_execz .LBB0_9
; %bb.8:
	global_load_dwordx4 v[104:107], v[216:217], off offset:1760
	ds_read_b128 v[100:103], v208 offset:1760
	s_waitcnt vmcnt(0) lgkmcnt(0)
	v_mul_f64 v[108:109], v[102:103], v[106:107]
	v_mul_f64 v[110:111], v[100:101], v[106:107]
	v_fma_f64 v[108:109], v[100:101], v[104:105], -v[108:109]
	v_fmac_f64_e32 v[110:111], v[102:103], v[104:105]
	global_load_dwordx4 v[104:107], v[216:217], off offset:3760
	ds_read_b128 v[100:103], v208 offset:3760
	ds_write_b128 v208, v[108:111] offset:1760
	s_waitcnt vmcnt(0) lgkmcnt(1)
	v_mul_f64 v[108:109], v[102:103], v[106:107]
	v_mul_f64 v[110:111], v[100:101], v[106:107]
	v_fma_f64 v[108:109], v[100:101], v[104:105], -v[108:109]
	v_fmac_f64_e32 v[110:111], v[102:103], v[104:105]
	global_load_dwordx4 v[104:107], v[214:215], off offset:1664
	ds_read_b128 v[100:103], v208 offset:5760
	ds_write_b128 v208, v[108:111] offset:3760
	;; [unrolled: 8-line block ×9, first 2 shown]
	s_waitcnt vmcnt(0) lgkmcnt(1)
	v_mul_f64 v[108:109], v[102:103], v[106:107]
	v_mul_f64 v[110:111], v[100:101], v[106:107]
	v_fma_f64 v[108:109], v[100:101], v[104:105], -v[108:109]
	v_fmac_f64_e32 v[110:111], v[102:103], v[104:105]
	v_mov_b32_e32 v104, 0x5500
	v_lshl_or_b32 v104, v250, 4, v104
	global_load_dwordx4 v[104:107], v104, s[8:9]
	ds_read_b128 v[100:103], v208 offset:21760
	ds_write_b128 v208, v[108:111] offset:19760
	s_waitcnt vmcnt(0) lgkmcnt(1)
	v_mul_f64 v[108:109], v[102:103], v[106:107]
	v_mul_f64 v[110:111], v[100:101], v[106:107]
	v_fma_f64 v[108:109], v[100:101], v[104:105], -v[108:109]
	v_fmac_f64_e32 v[110:111], v[102:103], v[104:105]
	ds_write_b128 v208, v[108:111] offset:21760
.LBB0_9:
	s_or_b64 exec, exec, s[0:1]
	s_waitcnt lgkmcnt(0)
	; wave barrier
	s_waitcnt lgkmcnt(0)
	ds_read_b128 v[184:187], v208
	ds_read_b128 v[124:127], v208 offset:880
	ds_read_b128 v[200:203], v208 offset:2000
	;; [unrolled: 1-line block ×21, first 2 shown]
	s_and_saveexec_b64 s[0:1], vcc
	s_cbranch_execz .LBB0_11
; %bb.10:
	ds_read_b128 v[96:99], v208 offset:1760
	ds_read_b128 v[88:91], v208 offset:3760
	;; [unrolled: 1-line block ×11, first 2 shown]
.LBB0_11:
	s_or_b64 exec, exec, s[0:1]
	s_waitcnt lgkmcnt(14)
	v_add_f64 v[144:145], v[184:185], v[200:201]
	v_add_f64 v[146:147], v[186:187], v[202:203]
	;; [unrolled: 1-line block ×6, first 2 shown]
	s_waitcnt lgkmcnt(13)
	v_add_f64 v[144:145], v[144:145], v[156:157]
	v_add_f64 v[146:147], v[146:147], v[158:159]
	s_waitcnt lgkmcnt(11)
	v_add_f64 v[144:145], v[144:145], v[148:149]
	v_add_f64 v[146:147], v[146:147], v[150:151]
	s_waitcnt lgkmcnt(9)
	v_add_f64 v[144:145], v[144:145], v[152:153]
	v_add_f64 v[146:147], v[146:147], v[154:155]
	s_waitcnt lgkmcnt(7)
	v_add_f64 v[144:145], v[144:145], v[160:161]
	v_add_f64 v[146:147], v[146:147], v[162:163]
	s_waitcnt lgkmcnt(5)
	v_add_f64 v[144:145], v[144:145], v[176:177]
	s_mov_b32 s8, 0xf8bb580b
	s_mov_b32 s14, 0x8eee2c13
	;; [unrolled: 1-line block ×5, first 2 shown]
	v_add_f64 v[146:147], v[146:147], v[178:179]
	s_waitcnt lgkmcnt(3)
	v_add_f64 v[144:145], v[144:145], v[196:197]
	s_waitcnt lgkmcnt(1)
	v_add_f64 v[214:215], v[202:203], v[206:207]
	v_add_f64 v[202:203], v[202:203], -v[206:207]
	s_mov_b32 s9, 0xbfe14ced
	s_mov_b32 s0, 0x8764f0ba
	s_mov_b32 s15, 0xbfed1bb4
	s_mov_b32 s12, 0xd9c712b6
	s_mov_b32 s19, 0xbfefac9e
	s_mov_b32 s16, 0x640f44db
	s_mov_b32 s23, 0xbfe82f19
	s_mov_b32 s20, 0x7f775887
	s_mov_b32 s29, 0xbfd207e7
	s_mov_b32 s24, 0x9bcd5057
	v_add_f64 v[146:147], v[146:147], v[198:199]
	v_add_f64 v[144:145], v[144:145], v[204:205]
	;; [unrolled: 1-line block ×3, first 2 shown]
	v_add_f64 v[200:201], v[200:201], -v[204:205]
	v_mul_f64 v[204:205], v[202:203], s[8:9]
	s_mov_b32 s1, 0x3feaeb8c
	v_mul_f64 v[222:223], v[202:203], s[14:15]
	s_mov_b32 s13, 0x3fda9628
	;; [unrolled: 2-line block ×5, first 2 shown]
	v_add_f64 v[146:147], v[146:147], v[206:207]
	v_fma_f64 v[206:207], s[0:1], v[212:213], v[204:205]
	v_fma_f64 v[204:205], v[212:213], s[0:1], -v[204:205]
	v_fma_f64 v[224:225], s[12:13], v[212:213], v[222:223]
	v_fma_f64 v[222:223], v[212:213], s[12:13], -v[222:223]
	;; [unrolled: 2-line block ×5, first 2 shown]
	v_add_f64 v[206:207], v[184:185], v[206:207]
	v_mul_f64 v[216:217], v[214:215], s[0:1]
	s_mov_b32 s27, 0x3fe14ced
	s_mov_b32 s26, s8
	v_add_f64 v[204:205], v[184:185], v[204:205]
	v_add_f64 v[224:225], v[184:185], v[224:225]
	v_mul_f64 v[226:227], v[214:215], s[12:13]
	s_mov_b32 s34, s14
	v_add_f64 v[222:223], v[184:185], v[222:223]
	v_add_f64 v[232:233], v[184:185], v[232:233]
	v_mul_f64 v[234:235], v[214:215], s[16:17]
	s_mov_b32 s31, 0x3fefac9e
	s_mov_b32 s30, s18
	v_add_f64 v[230:231], v[184:185], v[230:231]
	v_add_f64 v[240:241], v[184:185], v[240:241]
	v_mul_f64 v[242:243], v[214:215], s[20:21]
	s_mov_b32 s39, 0x3fe82f19
	;; [unrolled: 5-line block ×3, first 2 shown]
	s_mov_b32 s36, s28
	v_add_f64 v[184:185], v[184:185], v[202:203]
	v_add_f64 v[202:203], v[190:191], v[198:199]
	v_add_f64 v[190:191], v[190:191], -v[198:199]
	v_fma_f64 v[220:221], s[26:27], v[200:201], v[216:217]
	v_fmac_f64_e32 v[216:217], s[8:9], v[200:201]
	v_fma_f64 v[228:229], s[34:35], v[200:201], v[226:227]
	v_fmac_f64_e32 v[226:227], s[14:15], v[200:201]
	;; [unrolled: 2-line block ×5, first 2 shown]
	v_add_f64 v[200:201], v[188:189], v[196:197]
	v_add_f64 v[188:189], v[188:189], -v[196:197]
	v_mul_f64 v[196:197], v[190:191], s[14:15]
	v_fma_f64 v[198:199], s[12:13], v[200:201], v[196:197]
	v_add_f64 v[198:199], v[198:199], v[206:207]
	v_mul_f64 v[206:207], v[202:203], s[12:13]
	v_add_f64 v[216:217], v[186:187], v[216:217]
	v_fma_f64 v[212:213], s[34:35], v[188:189], v[206:207]
	v_fma_f64 v[196:197], v[200:201], s[12:13], -v[196:197]
	v_fmac_f64_e32 v[206:207], s[14:15], v[188:189]
	v_add_f64 v[196:197], v[196:197], v[204:205]
	v_add_f64 v[204:205], v[206:207], v[216:217]
	v_mul_f64 v[206:207], v[190:191], s[22:23]
	v_add_f64 v[220:221], v[186:187], v[220:221]
	v_add_f64 v[228:229], v[186:187], v[228:229]
	v_add_f64 v[226:227], v[186:187], v[226:227]
	v_add_f64 v[236:237], v[186:187], v[236:237]
	v_add_f64 v[234:235], v[186:187], v[234:235]
	v_add_f64 v[244:245], v[186:187], v[244:245]
	v_add_f64 v[242:243], v[186:187], v[242:243]
	v_add_f64 v[248:249], v[186:187], v[248:249]
	v_add_f64 v[186:187], v[186:187], v[214:215]
	v_fma_f64 v[214:215], s[20:21], v[200:201], v[206:207]
	v_fma_f64 v[206:207], v[200:201], s[20:21], -v[206:207]
	v_add_f64 v[206:207], v[206:207], v[222:223]
	v_mul_f64 v[222:223], v[190:191], s[36:37]
	v_add_f64 v[214:215], v[214:215], v[224:225]
	v_mul_f64 v[216:217], v[202:203], s[20:21]
	v_fma_f64 v[224:225], s[24:25], v[200:201], v[222:223]
	v_fma_f64 v[222:223], v[200:201], s[24:25], -v[222:223]
	v_add_f64 v[212:213], v[212:213], v[220:221]
	v_fma_f64 v[220:221], s[38:39], v[188:189], v[216:217]
	v_fmac_f64_e32 v[216:217], s[22:23], v[188:189]
	v_add_f64 v[222:223], v[222:223], v[230:231]
	v_mul_f64 v[230:231], v[190:191], s[30:31]
	v_add_f64 v[216:217], v[216:217], v[226:227]
	v_add_f64 v[224:225], v[224:225], v[232:233]
	v_mul_f64 v[226:227], v[202:203], s[24:25]
	v_fma_f64 v[232:233], s[16:17], v[200:201], v[230:231]
	v_fma_f64 v[230:231], v[200:201], s[16:17], -v[230:231]
	v_mul_f64 v[190:191], v[190:191], s[26:27]
	v_add_f64 v[220:221], v[220:221], v[228:229]
	v_fma_f64 v[228:229], s[28:29], v[188:189], v[226:227]
	v_fmac_f64_e32 v[226:227], s[36:37], v[188:189]
	v_add_f64 v[230:231], v[230:231], v[238:239]
	v_fma_f64 v[238:239], s[0:1], v[200:201], v[190:191]
	v_fma_f64 v[190:191], v[200:201], s[0:1], -v[190:191]
	v_add_f64 v[226:227], v[226:227], v[234:235]
	v_mul_f64 v[234:235], v[202:203], s[16:17]
	v_mul_f64 v[202:203], v[202:203], s[0:1]
	v_add_f64 v[184:185], v[190:191], v[184:185]
	v_add_f64 v[190:191], v[166:167], v[178:179]
	v_add_f64 v[166:167], v[166:167], -v[178:179]
	v_add_f64 v[228:229], v[228:229], v[236:237]
	v_add_f64 v[232:233], v[232:233], v[240:241]
	v_fma_f64 v[236:237], s[18:19], v[188:189], v[234:235]
	v_fmac_f64_e32 v[234:235], s[30:31], v[188:189]
	v_fma_f64 v[240:241], s[8:9], v[188:189], v[202:203]
	v_fmac_f64_e32 v[202:203], s[26:27], v[188:189]
	v_add_f64 v[188:189], v[164:165], v[176:177]
	v_add_f64 v[164:165], v[164:165], -v[176:177]
	v_mul_f64 v[176:177], v[166:167], s[18:19]
	v_fma_f64 v[178:179], s[16:17], v[188:189], v[176:177]
	v_add_f64 v[178:179], v[178:179], v[198:199]
	v_mul_f64 v[198:199], v[190:191], s[16:17]
	v_fma_f64 v[200:201], s[30:31], v[164:165], v[198:199]
	v_fma_f64 v[176:177], v[188:189], s[16:17], -v[176:177]
	v_fmac_f64_e32 v[198:199], s[18:19], v[164:165]
	v_add_f64 v[176:177], v[176:177], v[196:197]
	v_add_f64 v[196:197], v[198:199], v[204:205]
	v_mul_f64 v[198:199], v[166:167], s[36:37]
	v_add_f64 v[186:187], v[202:203], v[186:187]
	v_fma_f64 v[202:203], s[24:25], v[188:189], v[198:199]
	v_mul_f64 v[204:205], v[190:191], s[24:25]
	v_fma_f64 v[198:199], v[188:189], s[24:25], -v[198:199]
	v_add_f64 v[200:201], v[200:201], v[212:213]
	v_fma_f64 v[212:213], s[28:29], v[164:165], v[204:205]
	v_add_f64 v[198:199], v[198:199], v[206:207]
	v_fmac_f64_e32 v[204:205], s[36:37], v[164:165]
	v_mul_f64 v[206:207], v[166:167], s[34:35]
	v_add_f64 v[202:203], v[202:203], v[214:215]
	v_add_f64 v[204:205], v[204:205], v[216:217]
	v_fma_f64 v[214:215], s[12:13], v[188:189], v[206:207]
	v_mul_f64 v[216:217], v[190:191], s[12:13]
	v_fma_f64 v[206:207], v[188:189], s[12:13], -v[206:207]
	v_add_f64 v[212:213], v[212:213], v[220:221]
	v_fma_f64 v[220:221], s[14:15], v[164:165], v[216:217]
	v_add_f64 v[206:207], v[206:207], v[222:223]
	v_fmac_f64_e32 v[216:217], s[34:35], v[164:165]
	v_mul_f64 v[222:223], v[166:167], s[8:9]
	v_add_f64 v[214:215], v[214:215], v[224:225]
	v_add_f64 v[216:217], v[216:217], v[226:227]
	v_fma_f64 v[224:225], s[0:1], v[188:189], v[222:223]
	v_mul_f64 v[226:227], v[190:191], s[0:1]
	v_mul_f64 v[190:191], v[190:191], s[20:21]
	v_add_f64 v[224:225], v[224:225], v[232:233]
	v_fma_f64 v[222:223], v[188:189], s[0:1], -v[222:223]
	v_mul_f64 v[166:167], v[166:167], s[22:23]
	v_fma_f64 v[232:233], s[38:39], v[164:165], v[190:191]
	v_fmac_f64_e32 v[190:191], s[22:23], v[164:165]
	v_add_f64 v[220:221], v[220:221], v[228:229]
	v_fma_f64 v[228:229], s[26:27], v[164:165], v[226:227]
	v_add_f64 v[222:223], v[222:223], v[230:231]
	v_fmac_f64_e32 v[226:227], s[8:9], v[164:165]
	v_fma_f64 v[230:231], s[20:21], v[188:189], v[166:167]
	v_fma_f64 v[166:167], v[188:189], s[20:21], -v[166:167]
	v_add_f64 v[164:165], v[190:191], v[186:187]
	v_add_f64 v[186:187], v[158:159], v[162:163]
	v_add_f64 v[158:159], v[158:159], -v[162:163]
	v_add_f64 v[166:167], v[166:167], v[184:185]
	v_add_f64 v[184:185], v[156:157], v[160:161]
	v_add_f64 v[156:157], v[156:157], -v[160:161]
	v_mul_f64 v[160:161], v[158:159], s[22:23]
	v_fma_f64 v[162:163], s[20:21], v[184:185], v[160:161]
	v_add_f64 v[162:163], v[162:163], v[178:179]
	v_mul_f64 v[178:179], v[186:187], s[20:21]
	v_fma_f64 v[188:189], s[38:39], v[156:157], v[178:179]
	v_fma_f64 v[160:161], v[184:185], s[20:21], -v[160:161]
	v_fmac_f64_e32 v[178:179], s[22:23], v[156:157]
	v_add_f64 v[160:161], v[160:161], v[176:177]
	v_add_f64 v[176:177], v[178:179], v[196:197]
	v_mul_f64 v[178:179], v[158:159], s[30:31]
	v_fma_f64 v[190:191], s[16:17], v[184:185], v[178:179]
	v_fma_f64 v[178:179], v[184:185], s[16:17], -v[178:179]
	v_mul_f64 v[196:197], v[186:187], s[16:17]
	v_add_f64 v[178:179], v[178:179], v[198:199]
	v_mul_f64 v[198:199], v[158:159], s[8:9]
	v_add_f64 v[188:189], v[188:189], v[200:201]
	v_add_f64 v[190:191], v[190:191], v[202:203]
	v_fma_f64 v[200:201], s[18:19], v[156:157], v[196:197]
	v_fmac_f64_e32 v[196:197], s[30:31], v[156:157]
	v_fma_f64 v[202:203], s[0:1], v[184:185], v[198:199]
	v_fma_f64 v[198:199], v[184:185], s[0:1], -v[198:199]
	v_add_f64 v[196:197], v[196:197], v[204:205]
	v_mul_f64 v[204:205], v[186:187], s[0:1]
	v_add_f64 v[198:199], v[198:199], v[206:207]
	v_mul_f64 v[206:207], v[158:159], s[28:29]
	v_add_f64 v[236:237], v[236:237], v[244:245]
	v_add_f64 v[238:239], v[238:239], v[246:247]
	;; [unrolled: 1-line block ×4, first 2 shown]
	v_fma_f64 v[212:213], s[26:27], v[156:157], v[204:205]
	v_fmac_f64_e32 v[204:205], s[8:9], v[156:157]
	v_fma_f64 v[214:215], s[24:25], v[184:185], v[206:207]
	v_fma_f64 v[206:207], v[184:185], s[24:25], -v[206:207]
	v_mul_f64 v[158:159], v[158:159], s[34:35]
	v_add_f64 v[234:235], v[234:235], v[242:243]
	v_add_f64 v[240:241], v[240:241], v[248:249]
	;; [unrolled: 1-line block ×5, first 2 shown]
	v_mul_f64 v[216:217], v[186:187], s[24:25]
	v_add_f64 v[206:207], v[206:207], v[222:223]
	v_fma_f64 v[222:223], s[12:13], v[184:185], v[158:159]
	v_mul_f64 v[186:187], v[186:187], s[12:13]
	v_add_f64 v[236:237], v[150:151], -v[154:155]
	v_add_f64 v[226:227], v[226:227], v[234:235]
	v_add_f64 v[232:233], v[232:233], v[240:241]
	v_add_f64 v[214:215], v[214:215], v[224:225]
	v_add_f64 v[222:223], v[222:223], v[230:231]
	v_fma_f64 v[224:225], s[14:15], v[156:157], v[186:187]
	v_add_f64 v[230:231], v[148:149], v[152:153]
	v_add_f64 v[234:235], v[148:149], -v[152:153]
	v_mul_f64 v[148:149], v[236:237], s[28:29]
	v_add_f64 v[224:225], v[224:225], v[232:233]
	v_add_f64 v[232:233], v[150:151], v[154:155]
	v_fma_f64 v[150:151], s[24:25], v[230:231], v[148:149]
	v_add_f64 v[212:213], v[212:213], v[220:221]
	v_fma_f64 v[220:221], s[36:37], v[156:157], v[216:217]
	v_fmac_f64_e32 v[216:217], s[28:29], v[156:157]
	v_fmac_f64_e32 v[186:187], s[34:35], v[156:157]
	v_add_f64 v[156:157], v[150:151], v[162:163]
	v_mul_f64 v[150:151], v[232:233], s[24:25]
	v_fma_f64 v[158:159], v[184:185], s[12:13], -v[158:159]
	v_fma_f64 v[152:153], s[36:37], v[234:235], v[150:151]
	v_add_f64 v[216:217], v[216:217], v[226:227]
	v_add_f64 v[226:227], v[158:159], v[166:167]
	;; [unrolled: 1-line block ×3, first 2 shown]
	v_mul_f64 v[152:153], v[236:237], s[26:27]
	v_fma_f64 v[154:155], s[0:1], v[230:231], v[152:153]
	v_add_f64 v[220:221], v[220:221], v[228:229]
	v_add_f64 v[228:229], v[186:187], v[164:165]
	v_fma_f64 v[148:149], v[230:231], s[24:25], -v[148:149]
	v_add_f64 v[164:165], v[154:155], v[190:191]
	v_mul_f64 v[154:155], v[232:233], s[0:1]
	v_add_f64 v[148:149], v[148:149], v[160:161]
	v_fma_f64 v[160:161], s[8:9], v[234:235], v[154:155]
	v_add_f64 v[166:167], v[160:161], v[200:201]
	v_mul_f64 v[160:161], v[236:237], s[22:23]
	v_fmac_f64_e32 v[150:151], s[28:29], v[234:235]
	v_fma_f64 v[162:163], s[20:21], v[230:231], v[160:161]
	v_add_f64 v[150:151], v[150:151], v[176:177]
	v_fma_f64 v[152:153], v[230:231], s[0:1], -v[152:153]
	v_add_f64 v[176:177], v[162:163], v[202:203]
	v_mul_f64 v[162:163], v[232:233], s[20:21]
	v_add_f64 v[152:153], v[152:153], v[178:179]
	v_fma_f64 v[178:179], s[38:39], v[234:235], v[162:163]
	v_fmac_f64_e32 v[162:163], s[22:23], v[234:235]
	v_mul_f64 v[184:185], v[236:237], s[34:35]
	v_add_f64 v[162:163], v[162:163], v[204:205]
	v_fma_f64 v[186:187], s[12:13], v[230:231], v[184:185]
	v_fma_f64 v[184:185], v[230:231], s[12:13], -v[184:185]
	v_add_f64 v[204:205], v[124:125], v[136:137]
	v_add_f64 v[184:185], v[184:185], v[206:207]
	;; [unrolled: 1-line block ×14, first 2 shown]
	v_fmac_f64_e32 v[154:155], s[26:27], v[234:235]
	v_mul_f64 v[200:201], v[236:237], s[18:19]
	v_add_f64 v[206:207], v[206:207], v[114:115]
	v_add_f64 v[204:205], v[204:205], v[120:121]
	;; [unrolled: 1-line block ×3, first 2 shown]
	v_fma_f64 v[160:161], v[230:231], s[20:21], -v[160:161]
	v_add_f64 v[188:189], v[186:187], v[214:215]
	v_fma_f64 v[196:197], s[16:17], v[230:231], v[200:201]
	v_mul_f64 v[202:203], v[232:233], s[16:17]
	v_add_f64 v[206:207], v[206:207], v[122:123]
	v_add_f64 v[204:205], v[204:205], v[132:133]
	s_waitcnt lgkmcnt(0)
	v_add_f64 v[214:215], v[138:139], v[142:143]
	v_add_f64 v[138:139], v[138:139], -v[142:143]
	v_add_f64 v[178:179], v[178:179], v[212:213]
	v_add_f64 v[160:161], v[160:161], v[198:199]
	v_mul_f64 v[186:187], v[232:233], s[12:13]
	v_add_f64 v[196:197], v[196:197], v[222:223]
	v_fma_f64 v[198:199], s[30:31], v[234:235], v[202:203]
	v_fma_f64 v[200:201], v[230:231], s[16:17], -v[200:201]
	v_add_f64 v[206:207], v[206:207], v[134:135]
	v_add_f64 v[204:205], v[204:205], v[140:141]
	;; [unrolled: 1-line block ×3, first 2 shown]
	v_add_f64 v[136:137], v[136:137], -v[140:141]
	v_mul_f64 v[140:141], v[138:139], s[8:9]
	v_mul_f64 v[222:223], v[138:139], s[14:15]
	;; [unrolled: 1-line block ×5, first 2 shown]
	v_fma_f64 v[190:191], s[14:15], v[234:235], v[186:187]
	v_fmac_f64_e32 v[186:187], s[34:35], v[234:235]
	v_add_f64 v[198:199], v[198:199], v[224:225]
	v_add_f64 v[206:207], v[206:207], v[142:143]
	v_fma_f64 v[142:143], s[0:1], v[212:213], v[140:141]
	v_fma_f64 v[140:141], v[212:213], s[0:1], -v[140:141]
	v_fma_f64 v[224:225], s[12:13], v[212:213], v[222:223]
	v_fma_f64 v[222:223], v[212:213], s[12:13], -v[222:223]
	;; [unrolled: 2-line block ×5, first 2 shown]
	v_add_f64 v[186:187], v[186:187], v[216:217]
	v_add_f64 v[200:201], v[200:201], v[226:227]
	v_fmac_f64_e32 v[202:203], s[18:19], v[234:235]
	v_add_f64 v[142:143], v[124:125], v[142:143]
	v_mul_f64 v[216:217], v[214:215], s[0:1]
	v_add_f64 v[140:141], v[124:125], v[140:141]
	v_add_f64 v[224:225], v[124:125], v[224:225]
	v_mul_f64 v[226:227], v[214:215], s[12:13]
	v_add_f64 v[222:223], v[124:125], v[222:223]
	;; [unrolled: 3-line block ×5, first 2 shown]
	v_add_f64 v[138:139], v[130:131], v[134:135]
	v_add_f64 v[130:131], v[130:131], -v[134:135]
	v_add_f64 v[190:191], v[190:191], v[220:221]
	v_add_f64 v[202:203], v[202:203], v[228:229]
	v_fma_f64 v[220:221], s[26:27], v[136:137], v[216:217]
	v_fmac_f64_e32 v[216:217], s[8:9], v[136:137]
	v_fma_f64 v[228:229], s[34:35], v[136:137], v[226:227]
	v_fmac_f64_e32 v[226:227], s[14:15], v[136:137]
	v_fma_f64 v[236:237], s[30:31], v[136:137], v[234:235]
	v_fmac_f64_e32 v[234:235], s[18:19], v[136:137]
	v_fma_f64 v[244:245], s[38:39], v[136:137], v[242:243]
	v_fmac_f64_e32 v[242:243], s[22:23], v[136:137]
	v_fma_f64 v[248:249], s[36:37], v[136:137], v[214:215]
	v_fmac_f64_e32 v[214:215], s[28:29], v[136:137]
	v_add_f64 v[136:137], v[128:129], v[132:133]
	v_add_f64 v[128:129], v[128:129], -v[132:133]
	v_mul_f64 v[132:133], v[130:131], s[14:15]
	v_fma_f64 v[134:135], s[12:13], v[136:137], v[132:133]
	v_add_f64 v[134:135], v[134:135], v[142:143]
	v_mul_f64 v[142:143], v[138:139], s[12:13]
	v_add_f64 v[216:217], v[126:127], v[216:217]
	v_fma_f64 v[212:213], s[34:35], v[128:129], v[142:143]
	v_fma_f64 v[132:133], v[136:137], s[12:13], -v[132:133]
	v_fmac_f64_e32 v[142:143], s[14:15], v[128:129]
	v_add_f64 v[132:133], v[132:133], v[140:141]
	v_add_f64 v[140:141], v[142:143], v[216:217]
	v_mul_f64 v[142:143], v[130:131], s[22:23]
	v_add_f64 v[220:221], v[126:127], v[220:221]
	v_add_f64 v[228:229], v[126:127], v[228:229]
	;; [unrolled: 1-line block ×9, first 2 shown]
	v_fma_f64 v[214:215], s[20:21], v[136:137], v[142:143]
	v_fma_f64 v[142:143], v[136:137], s[20:21], -v[142:143]
	v_add_f64 v[142:143], v[142:143], v[222:223]
	v_mul_f64 v[222:223], v[130:131], s[36:37]
	v_add_f64 v[214:215], v[214:215], v[224:225]
	v_mul_f64 v[216:217], v[138:139], s[20:21]
	v_fma_f64 v[224:225], s[24:25], v[136:137], v[222:223]
	v_fma_f64 v[222:223], v[136:137], s[24:25], -v[222:223]
	v_add_f64 v[212:213], v[212:213], v[220:221]
	v_fma_f64 v[220:221], s[38:39], v[128:129], v[216:217]
	v_fmac_f64_e32 v[216:217], s[22:23], v[128:129]
	v_add_f64 v[222:223], v[222:223], v[230:231]
	v_mul_f64 v[230:231], v[130:131], s[30:31]
	v_add_f64 v[216:217], v[216:217], v[226:227]
	v_add_f64 v[224:225], v[224:225], v[232:233]
	v_mul_f64 v[226:227], v[138:139], s[24:25]
	v_fma_f64 v[232:233], s[16:17], v[136:137], v[230:231]
	v_fma_f64 v[230:231], v[136:137], s[16:17], -v[230:231]
	v_mul_f64 v[130:131], v[130:131], s[26:27]
	v_add_f64 v[220:221], v[220:221], v[228:229]
	v_fma_f64 v[228:229], s[28:29], v[128:129], v[226:227]
	v_fmac_f64_e32 v[226:227], s[36:37], v[128:129]
	v_add_f64 v[230:231], v[230:231], v[238:239]
	v_fma_f64 v[238:239], s[0:1], v[136:137], v[130:131]
	v_fma_f64 v[130:131], v[136:137], s[0:1], -v[130:131]
	v_add_f64 v[226:227], v[226:227], v[234:235]
	v_mul_f64 v[234:235], v[138:139], s[16:17]
	v_mul_f64 v[138:139], v[138:139], s[0:1]
	v_add_f64 v[124:125], v[130:131], v[124:125]
	v_add_f64 v[130:131], v[118:119], v[122:123]
	v_add_f64 v[118:119], v[118:119], -v[122:123]
	v_add_f64 v[228:229], v[228:229], v[236:237]
	v_add_f64 v[232:233], v[232:233], v[240:241]
	v_fma_f64 v[236:237], s[18:19], v[128:129], v[234:235]
	v_fmac_f64_e32 v[234:235], s[30:31], v[128:129]
	v_fma_f64 v[240:241], s[8:9], v[128:129], v[138:139]
	v_fmac_f64_e32 v[138:139], s[26:27], v[128:129]
	v_add_f64 v[128:129], v[116:117], v[120:121]
	v_add_f64 v[116:117], v[116:117], -v[120:121]
	v_mul_f64 v[120:121], v[118:119], s[18:19]
	v_fma_f64 v[122:123], s[16:17], v[128:129], v[120:121]
	v_add_f64 v[122:123], v[122:123], v[134:135]
	v_mul_f64 v[134:135], v[130:131], s[16:17]
	v_fma_f64 v[136:137], s[30:31], v[116:117], v[134:135]
	v_fma_f64 v[120:121], v[128:129], s[16:17], -v[120:121]
	v_fmac_f64_e32 v[134:135], s[18:19], v[116:117]
	v_add_f64 v[120:121], v[120:121], v[132:133]
	v_add_f64 v[132:133], v[134:135], v[140:141]
	v_mul_f64 v[134:135], v[118:119], s[36:37]
	v_add_f64 v[126:127], v[138:139], v[126:127]
	v_fma_f64 v[138:139], s[24:25], v[128:129], v[134:135]
	v_mul_f64 v[140:141], v[130:131], s[24:25]
	v_fma_f64 v[134:135], v[128:129], s[24:25], -v[134:135]
	v_add_f64 v[136:137], v[136:137], v[212:213]
	v_fma_f64 v[212:213], s[28:29], v[116:117], v[140:141]
	v_add_f64 v[134:135], v[134:135], v[142:143]
	v_fmac_f64_e32 v[140:141], s[36:37], v[116:117]
	v_mul_f64 v[142:143], v[118:119], s[34:35]
	v_add_f64 v[138:139], v[138:139], v[214:215]
	v_add_f64 v[140:141], v[140:141], v[216:217]
	v_fma_f64 v[214:215], s[12:13], v[128:129], v[142:143]
	v_mul_f64 v[216:217], v[130:131], s[12:13]
	v_fma_f64 v[142:143], v[128:129], s[12:13], -v[142:143]
	v_add_f64 v[212:213], v[212:213], v[220:221]
	v_fma_f64 v[220:221], s[14:15], v[116:117], v[216:217]
	v_add_f64 v[142:143], v[142:143], v[222:223]
	v_fmac_f64_e32 v[216:217], s[34:35], v[116:117]
	v_mul_f64 v[222:223], v[118:119], s[8:9]
	v_add_f64 v[214:215], v[214:215], v[224:225]
	v_add_f64 v[216:217], v[216:217], v[226:227]
	v_fma_f64 v[224:225], s[0:1], v[128:129], v[222:223]
	v_mul_f64 v[226:227], v[130:131], s[0:1]
	v_mul_f64 v[130:131], v[130:131], s[20:21]
	v_add_f64 v[224:225], v[224:225], v[232:233]
	v_fma_f64 v[222:223], v[128:129], s[0:1], -v[222:223]
	v_mul_f64 v[118:119], v[118:119], s[22:23]
	v_fma_f64 v[232:233], s[38:39], v[116:117], v[130:131]
	v_fmac_f64_e32 v[130:131], s[22:23], v[116:117]
	v_add_f64 v[220:221], v[220:221], v[228:229]
	v_fma_f64 v[228:229], s[26:27], v[116:117], v[226:227]
	v_add_f64 v[222:223], v[222:223], v[230:231]
	v_fmac_f64_e32 v[226:227], s[8:9], v[116:117]
	v_fma_f64 v[230:231], s[20:21], v[128:129], v[118:119]
	v_fma_f64 v[118:119], v[128:129], s[20:21], -v[118:119]
	v_add_f64 v[116:117], v[130:131], v[126:127]
	v_add_f64 v[126:127], v[110:111], v[114:115]
	v_add_f64 v[110:111], v[110:111], -v[114:115]
	v_add_f64 v[118:119], v[118:119], v[124:125]
	v_add_f64 v[124:125], v[108:109], v[112:113]
	v_add_f64 v[108:109], v[108:109], -v[112:113]
	v_mul_f64 v[112:113], v[110:111], s[22:23]
	v_fma_f64 v[114:115], s[20:21], v[124:125], v[112:113]
	v_add_f64 v[114:115], v[114:115], v[122:123]
	v_mul_f64 v[122:123], v[126:127], s[20:21]
	v_fma_f64 v[128:129], s[38:39], v[108:109], v[122:123]
	v_fma_f64 v[112:113], v[124:125], s[20:21], -v[112:113]
	v_fmac_f64_e32 v[122:123], s[22:23], v[108:109]
	v_add_f64 v[112:113], v[112:113], v[120:121]
	v_add_f64 v[120:121], v[122:123], v[132:133]
	v_mul_f64 v[122:123], v[110:111], s[30:31]
	v_fma_f64 v[130:131], s[16:17], v[124:125], v[122:123]
	v_mul_f64 v[132:133], v[126:127], s[16:17]
	v_fma_f64 v[122:123], v[124:125], s[16:17], -v[122:123]
	v_add_f64 v[128:129], v[128:129], v[136:137]
	v_fma_f64 v[136:137], s[18:19], v[108:109], v[132:133]
	v_add_f64 v[122:123], v[122:123], v[134:135]
	v_fmac_f64_e32 v[132:133], s[30:31], v[108:109]
	v_mul_f64 v[134:135], v[110:111], s[8:9]
	v_add_f64 v[130:131], v[130:131], v[138:139]
	v_add_f64 v[132:133], v[132:133], v[140:141]
	v_fma_f64 v[138:139], s[0:1], v[124:125], v[134:135]
	v_mul_f64 v[140:141], v[126:127], s[0:1]
	v_fma_f64 v[134:135], v[124:125], s[0:1], -v[134:135]
	v_add_f64 v[136:137], v[136:137], v[212:213]
	v_fma_f64 v[212:213], s[26:27], v[108:109], v[140:141]
	v_add_f64 v[134:135], v[134:135], v[142:143]
	v_fmac_f64_e32 v[140:141], s[8:9], v[108:109]
	v_mul_f64 v[142:143], v[110:111], s[28:29]
	v_add_f64 v[240:241], v[240:241], v[248:249]
	v_add_f64 v[138:139], v[138:139], v[214:215]
	;; [unrolled: 1-line block ×3, first 2 shown]
	v_fma_f64 v[214:215], s[24:25], v[124:125], v[142:143]
	v_mul_f64 v[216:217], v[126:127], s[24:25]
	v_mul_f64 v[126:127], v[126:127], s[12:13]
	v_add_f64 v[236:237], v[236:237], v[244:245]
	v_add_f64 v[238:239], v[238:239], v[246:247]
	v_add_f64 v[232:233], v[232:233], v[240:241]
	v_add_f64 v[214:215], v[214:215], v[224:225]
	v_fma_f64 v[142:143], v[124:125], s[24:25], -v[142:143]
	v_mul_f64 v[110:111], v[110:111], s[34:35]
	v_fma_f64 v[224:225], s[14:15], v[108:109], v[126:127]
	v_add_f64 v[234:235], v[234:235], v[242:243]
	v_add_f64 v[228:229], v[228:229], v[236:237]
	;; [unrolled: 1-line block ×4, first 2 shown]
	v_fma_f64 v[222:223], s[12:13], v[124:125], v[110:111]
	v_add_f64 v[224:225], v[224:225], v[232:233]
	v_add_f64 v[232:233], v[102:103], v[106:107]
	v_add_f64 v[236:237], v[102:103], -v[106:107]
	v_add_f64 v[226:227], v[226:227], v[234:235]
	v_add_f64 v[222:223], v[222:223], v[230:231]
	;; [unrolled: 1-line block ×3, first 2 shown]
	v_add_f64 v[234:235], v[100:101], -v[104:105]
	v_mul_f64 v[104:105], v[236:237], s[28:29]
	v_mul_f64 v[106:107], v[232:233], s[24:25]
	v_fma_f64 v[100:101], s[24:25], v[230:231], v[104:105]
	v_fma_f64 v[102:103], s[36:37], v[234:235], v[106:107]
	v_fma_f64 v[104:105], v[230:231], s[24:25], -v[104:105]
	v_fmac_f64_e32 v[106:107], s[28:29], v[234:235]
	v_add_f64 v[212:213], v[212:213], v[220:221]
	v_fma_f64 v[220:221], s[36:37], v[108:109], v[216:217]
	v_fmac_f64_e32 v[216:217], s[28:29], v[108:109]
	v_fma_f64 v[110:111], v[124:125], s[12:13], -v[110:111]
	v_fmac_f64_e32 v[126:127], s[34:35], v[108:109]
	v_add_f64 v[100:101], v[100:101], v[114:115]
	v_add_f64 v[104:105], v[104:105], v[112:113]
	;; [unrolled: 1-line block ×3, first 2 shown]
	v_mul_f64 v[112:113], v[236:237], s[26:27]
	v_mul_f64 v[114:115], v[232:233], s[0:1]
	;; [unrolled: 1-line block ×3, first 2 shown]
	v_add_f64 v[220:221], v[220:221], v[228:229]
	v_add_f64 v[216:217], v[216:217], v[226:227]
	;; [unrolled: 1-line block ×4, first 2 shown]
	v_fma_f64 v[108:109], s[0:1], v[230:231], v[112:113]
	v_fma_f64 v[110:111], s[8:9], v[234:235], v[114:115]
	v_fma_f64 v[112:113], v[230:231], s[0:1], -v[112:113]
	v_fma_f64 v[116:117], s[20:21], v[230:231], v[120:121]
	v_add_f64 v[102:103], v[102:103], v[128:129]
	v_add_f64 v[108:109], v[108:109], v[130:131]
	;; [unrolled: 1-line block ×4, first 2 shown]
	v_fmac_f64_e32 v[114:115], s[26:27], v[234:235]
	v_add_f64 v[116:117], v[116:117], v[138:139]
	v_mul_f64 v[122:123], v[232:233], s[20:21]
	v_fma_f64 v[120:121], v[230:231], s[20:21], -v[120:121]
	v_mul_f64 v[128:129], v[236:237], s[34:35]
	v_mul_f64 v[130:131], v[232:233], s[12:13]
	;; [unrolled: 1-line block ×4, first 2 shown]
	v_add_f64 v[114:115], v[114:115], v[132:133]
	v_fma_f64 v[118:119], s[38:39], v[234:235], v[122:123]
	v_add_f64 v[120:121], v[120:121], v[134:135]
	v_fmac_f64_e32 v[122:123], s[22:23], v[234:235]
	v_fma_f64 v[124:125], s[12:13], v[230:231], v[128:129]
	v_fma_f64 v[126:127], s[14:15], v[234:235], v[130:131]
	v_fma_f64 v[128:129], v[230:231], s[12:13], -v[128:129]
	v_fmac_f64_e32 v[130:131], s[34:35], v[234:235]
	v_fma_f64 v[132:133], s[16:17], v[230:231], v[136:137]
	v_fma_f64 v[134:135], s[30:31], v[234:235], v[138:139]
	v_fma_f64 v[136:137], v[230:231], s[16:17], -v[136:137]
	v_fmac_f64_e32 v[138:139], s[18:19], v[234:235]
	v_add_f64 v[118:119], v[118:119], v[212:213]
	v_add_f64 v[122:123], v[122:123], v[140:141]
	;; [unrolled: 1-line block ×10, first 2 shown]
	s_waitcnt lgkmcnt(0)
	; wave barrier
	ds_write_b128 v218, v[144:147]
	ds_write_b128 v218, v[156:159] offset:16
	ds_write_b128 v218, v[164:167] offset:32
	;; [unrolled: 1-line block ×10, first 2 shown]
	ds_write_b128 v219, v[204:207]
	ds_write_b128 v219, v[100:103] offset:16
	ds_write_b128 v219, v[108:111] offset:32
	;; [unrolled: 1-line block ×10, first 2 shown]
	s_and_saveexec_b64 s[38:39], vcc
	s_cbranch_execz .LBB0_13
; %bb.12:
	v_accvgpr_read_b32 v247, a121
	v_accvgpr_read_b32 v231, a105
	v_accvgpr_read_b32 v245, a119
	v_accvgpr_read_b32 v244, a118
	v_accvgpr_read_b32 v219, a93
	v_accvgpr_read_b32 v235, a109
	v_accvgpr_read_b32 v229, a103
	v_accvgpr_read_b32 v228, a102
	v_accvgpr_read_b32 v246, a120
	v_add_f64 v[144:145], v[88:89], -v[244:245]
	v_accvgpr_read_b32 v223, a97
	v_accvgpr_read_b32 v239, a113
	;; [unrolled: 1-line block ×7, first 2 shown]
	v_add_f64 v[142:143], v[92:93], -v[228:229]
	v_mul_f64 v[152:153], v[144:145], s[28:29]
	v_add_f64 v[124:125], v[90:91], v[246:247]
	v_accvgpr_read_b32 v227, a101
	v_accvgpr_read_b32 v243, a117
	;; [unrolled: 1-line block ×8, first 2 shown]
	v_add_f64 v[140:141], v[216:217], -v[232:233]
	v_mul_f64 v[112:113], v[142:143], s[26:27]
	v_add_f64 v[122:123], v[94:95], v[230:231]
	v_fma_f64 v[126:127], s[24:25], v[124:125], v[152:153]
	v_fma_f64 v[152:153], v[124:125], s[24:25], -v[152:153]
	v_accvgpr_read_b32 v225, a99
	v_accvgpr_read_b32 v224, a98
	;; [unrolled: 1-line block ×6, first 2 shown]
	v_add_f64 v[138:139], v[220:221], -v[236:237]
	v_mul_f64 v[108:109], v[140:141], s[22:23]
	v_add_f64 v[120:121], v[218:219], v[234:235]
	v_fma_f64 v[114:115], s[0:1], v[122:123], v[112:113]
	v_fma_f64 v[112:113], v[122:123], s[0:1], -v[112:113]
	v_add_f64 v[152:153], v[98:99], v[152:153]
	v_accvgpr_read_b32 v226, a100
	v_accvgpr_read_b32 v242, a116
	v_add_f64 v[136:137], v[224:225], -v[240:241]
	v_mul_f64 v[106:107], v[138:139], s[34:35]
	v_add_f64 v[118:119], v[222:223], v[238:239]
	v_fma_f64 v[110:111], s[20:21], v[120:121], v[108:109]
	v_add_f64 v[178:179], v[90:91], -v[246:247]
	v_fma_f64 v[108:109], v[120:121], s[20:21], -v[108:109]
	v_add_f64 v[112:113], v[112:113], v[152:153]
	v_mul_f64 v[104:105], v[136:137], s[18:19]
	v_add_f64 v[116:117], v[226:227], v[242:243]
	v_fma_f64 v[102:103], s[12:13], v[118:119], v[106:107]
	v_add_f64 v[176:177], v[94:95], -v[230:231]
	v_add_f64 v[134:135], v[88:89], v[244:245]
	v_mul_f64 v[164:165], v[178:179], s[28:29]
	v_fma_f64 v[106:107], v[118:119], s[12:13], -v[106:107]
	v_add_f64 v[108:109], v[108:109], v[112:113]
	v_fma_f64 v[100:101], s[16:17], v[116:117], v[104:105]
	v_add_f64 v[126:127], v[98:99], v[126:127]
	v_add_f64 v[150:151], v[218:219], -v[234:235]
	v_add_f64 v[132:133], v[92:93], v[228:229]
	v_mul_f64 v[160:161], v[176:177], s[26:27]
	v_fma_f64 v[166:167], v[134:135], s[24:25], -v[164:165]
	v_fma_f64 v[104:105], v[116:117], s[16:17], -v[104:105]
	v_add_f64 v[106:107], v[106:107], v[108:109]
	v_fmac_f64_e32 v[164:165], s[24:25], v[134:135]
	v_add_f64 v[114:115], v[114:115], v[126:127]
	v_add_f64 v[148:149], v[222:223], -v[238:239]
	v_add_f64 v[130:131], v[216:217], v[232:233]
	v_mul_f64 v[156:157], v[150:151], s[22:23]
	v_fma_f64 v[162:163], v[132:133], s[0:1], -v[160:161]
	v_add_f64 v[166:167], v[96:97], v[166:167]
	v_add_f64 v[106:107], v[104:105], v[106:107]
	v_fmac_f64_e32 v[160:161], s[0:1], v[132:133]
	v_add_f64 v[104:105], v[96:97], v[164:165]
	v_add_f64 v[110:111], v[110:111], v[114:115]
	v_add_f64 v[146:147], v[226:227], -v[242:243]
	v_add_f64 v[128:129], v[220:221], v[236:237]
	v_mul_f64 v[114:115], v[148:149], s[34:35]
	v_fma_f64 v[158:159], v[130:131], s[20:21], -v[156:157]
	v_add_f64 v[162:163], v[162:163], v[166:167]
	v_fmac_f64_e32 v[156:157], s[20:21], v[130:131]
	v_add_f64 v[104:105], v[160:161], v[104:105]
	v_mul_f64 v[160:161], v[144:145], s[22:23]
	v_add_f64 v[102:103], v[102:103], v[110:111]
	v_add_f64 v[126:127], v[224:225], v[240:241]
	v_mul_f64 v[110:111], v[146:147], s[18:19]
	v_fma_f64 v[154:155], v[128:129], s[12:13], -v[114:115]
	v_add_f64 v[158:159], v[158:159], v[162:163]
	v_add_f64 v[104:105], v[156:157], v[104:105]
	v_mul_f64 v[156:157], v[142:143], s[30:31]
	v_fma_f64 v[162:163], s[20:21], v[124:125], v[160:161]
	v_fma_f64 v[160:161], v[124:125], s[20:21], -v[160:161]
	v_add_f64 v[102:103], v[100:101], v[102:103]
	v_fma_f64 v[100:101], v[126:127], s[16:17], -v[110:111]
	v_add_f64 v[154:155], v[154:155], v[158:159]
	v_fmac_f64_e32 v[114:115], s[12:13], v[128:129]
	v_mul_f64 v[152:153], v[140:141], s[8:9]
	v_fma_f64 v[158:159], s[16:17], v[122:123], v[156:157]
	v_fma_f64 v[156:157], v[122:123], s[16:17], -v[156:157]
	v_add_f64 v[160:161], v[98:99], v[160:161]
	v_add_f64 v[100:101], v[100:101], v[154:155]
	v_fmac_f64_e32 v[110:111], s[16:17], v[126:127]
	v_add_f64 v[104:105], v[114:115], v[104:105]
	v_mul_f64 v[114:115], v[138:139], s[28:29]
	v_fma_f64 v[154:155], s[0:1], v[120:121], v[152:153]
	v_fma_f64 v[152:153], v[120:121], s[0:1], -v[152:153]
	v_add_f64 v[156:157], v[156:157], v[160:161]
	v_add_f64 v[104:105], v[110:111], v[104:105]
	v_mul_f64 v[112:113], v[136:137], s[34:35]
	v_fma_f64 v[110:111], s[24:25], v[118:119], v[114:115]
	v_mul_f64 v[188:189], v[178:179], s[22:23]
	v_fma_f64 v[114:115], v[118:119], s[24:25], -v[114:115]
	v_add_f64 v[152:153], v[152:153], v[156:157]
	v_fma_f64 v[108:109], s[12:13], v[116:117], v[112:113]
	v_add_f64 v[162:163], v[98:99], v[162:163]
	v_mul_f64 v[184:185], v[176:177], s[30:31]
	v_fma_f64 v[190:191], v[134:135], s[20:21], -v[188:189]
	v_fma_f64 v[112:113], v[116:117], s[12:13], -v[112:113]
	v_add_f64 v[114:115], v[114:115], v[152:153]
	v_fmac_f64_e32 v[188:189], s[20:21], v[134:135]
	v_add_f64 v[158:159], v[158:159], v[162:163]
	v_mul_f64 v[164:165], v[150:151], s[8:9]
	v_fma_f64 v[186:187], v[132:133], s[16:17], -v[184:185]
	v_add_f64 v[190:191], v[96:97], v[190:191]
	v_add_f64 v[114:115], v[112:113], v[114:115]
	v_fmac_f64_e32 v[184:185], s[16:17], v[132:133]
	v_add_f64 v[112:113], v[96:97], v[188:189]
	v_add_f64 v[154:155], v[154:155], v[158:159]
	v_mul_f64 v[158:159], v[148:149], s[28:29]
	v_fma_f64 v[166:167], v[130:131], s[0:1], -v[164:165]
	v_add_f64 v[186:187], v[186:187], v[190:191]
	v_fmac_f64_e32 v[164:165], s[0:1], v[130:131]
	v_add_f64 v[112:113], v[184:185], v[112:113]
	v_mul_f64 v[184:185], v[144:145], s[18:19]
	v_add_f64 v[110:111], v[110:111], v[154:155]
	v_mul_f64 v[154:155], v[146:147], s[34:35]
	v_fma_f64 v[162:163], v[128:129], s[24:25], -v[158:159]
	v_add_f64 v[166:167], v[166:167], v[186:187]
	v_add_f64 v[112:113], v[164:165], v[112:113]
	v_mul_f64 v[164:165], v[142:143], s[36:37]
	v_fma_f64 v[186:187], s[16:17], v[124:125], v[184:185]
	v_fma_f64 v[184:185], v[124:125], s[16:17], -v[184:185]
	v_add_f64 v[110:111], v[108:109], v[110:111]
	v_fma_f64 v[108:109], v[126:127], s[12:13], -v[154:155]
	v_add_f64 v[162:163], v[162:163], v[166:167]
	v_fmac_f64_e32 v[158:159], s[24:25], v[128:129]
	v_mul_f64 v[160:161], v[140:141], s[34:35]
	v_fma_f64 v[166:167], s[24:25], v[122:123], v[164:165]
	v_fma_f64 v[164:165], v[122:123], s[24:25], -v[164:165]
	v_add_f64 v[184:185], v[98:99], v[184:185]
	v_add_f64 v[108:109], v[108:109], v[162:163]
	v_fmac_f64_e32 v[154:155], s[12:13], v[126:127]
	v_add_f64 v[112:113], v[158:159], v[112:113]
	v_mul_f64 v[158:159], v[138:139], s[8:9]
	v_fma_f64 v[162:163], s[12:13], v[120:121], v[160:161]
	v_fma_f64 v[160:161], v[120:121], s[12:13], -v[160:161]
	v_add_f64 v[164:165], v[164:165], v[184:185]
	v_add_f64 v[112:113], v[154:155], v[112:113]
	v_mul_f64 v[156:157], v[136:137], s[22:23]
	v_fma_f64 v[154:155], s[0:1], v[118:119], v[158:159]
	v_mul_f64 v[200:201], v[178:179], s[18:19]
	v_fma_f64 v[158:159], v[118:119], s[0:1], -v[158:159]
	v_add_f64 v[160:161], v[160:161], v[164:165]
	v_fma_f64 v[152:153], s[20:21], v[116:117], v[156:157]
	v_add_f64 v[186:187], v[98:99], v[186:187]
	v_mul_f64 v[196:197], v[176:177], s[36:37]
	v_fma_f64 v[202:203], v[134:135], s[16:17], -v[200:201]
	v_fma_f64 v[156:157], v[116:117], s[20:21], -v[156:157]
	v_add_f64 v[158:159], v[158:159], v[160:161]
	v_fmac_f64_e32 v[200:201], s[16:17], v[134:135]
	v_add_f64 v[166:167], v[166:167], v[186:187]
	v_mul_f64 v[188:189], v[150:151], s[34:35]
	v_fma_f64 v[198:199], v[132:133], s[24:25], -v[196:197]
	v_add_f64 v[202:203], v[96:97], v[202:203]
	v_add_f64 v[158:159], v[156:157], v[158:159]
	v_fmac_f64_e32 v[196:197], s[24:25], v[132:133]
	v_add_f64 v[156:157], v[96:97], v[200:201]
	v_add_f64 v[162:163], v[162:163], v[166:167]
	v_mul_f64 v[166:167], v[148:149], s[8:9]
	v_fma_f64 v[190:191], v[130:131], s[12:13], -v[188:189]
	v_add_f64 v[198:199], v[198:199], v[202:203]
	v_fmac_f64_e32 v[188:189], s[12:13], v[130:131]
	v_add_f64 v[156:157], v[196:197], v[156:157]
	v_mul_f64 v[196:197], v[144:145], s[14:15]
	v_add_f64 v[154:155], v[154:155], v[162:163]
	v_mul_f64 v[162:163], v[146:147], s[22:23]
	v_fma_f64 v[186:187], v[128:129], s[0:1], -v[166:167]
	v_add_f64 v[190:191], v[190:191], v[198:199]
	v_add_f64 v[156:157], v[188:189], v[156:157]
	v_mul_f64 v[188:189], v[142:143], s[22:23]
	v_fma_f64 v[198:199], s[12:13], v[124:125], v[196:197]
	v_fma_f64 v[196:197], v[124:125], s[12:13], -v[196:197]
	v_add_f64 v[154:155], v[152:153], v[154:155]
	v_fma_f64 v[152:153], v[126:127], s[20:21], -v[162:163]
	v_add_f64 v[186:187], v[186:187], v[190:191]
	v_fmac_f64_e32 v[166:167], s[0:1], v[128:129]
	v_mul_f64 v[184:185], v[140:141], s[36:37]
	v_fma_f64 v[190:191], s[20:21], v[122:123], v[188:189]
	v_fma_f64 v[188:189], v[122:123], s[20:21], -v[188:189]
	v_add_f64 v[196:197], v[98:99], v[196:197]
	v_add_f64 v[152:153], v[152:153], v[186:187]
	v_fmac_f64_e32 v[162:163], s[20:21], v[126:127]
	v_add_f64 v[156:157], v[166:167], v[156:157]
	v_mul_f64 v[166:167], v[138:139], s[30:31]
	v_fma_f64 v[186:187], s[24:25], v[120:121], v[184:185]
	v_fma_f64 v[184:185], v[120:121], s[24:25], -v[184:185]
	v_add_f64 v[188:189], v[188:189], v[196:197]
	v_add_f64 v[156:157], v[162:163], v[156:157]
	v_mul_f64 v[164:165], v[136:137], s[26:27]
	v_fma_f64 v[162:163], s[16:17], v[118:119], v[166:167]
	v_mul_f64 v[212:213], v[178:179], s[14:15]
	v_fma_f64 v[166:167], v[118:119], s[16:17], -v[166:167]
	v_add_f64 v[184:185], v[184:185], v[188:189]
	v_fma_f64 v[160:161], s[0:1], v[116:117], v[164:165]
	v_add_f64 v[198:199], v[98:99], v[198:199]
	v_mul_f64 v[204:205], v[176:177], s[22:23]
	v_fma_f64 v[214:215], v[134:135], s[12:13], -v[212:213]
	v_fma_f64 v[164:165], v[116:117], s[0:1], -v[164:165]
	v_add_f64 v[166:167], v[166:167], v[184:185]
	v_fmac_f64_e32 v[212:213], s[12:13], v[134:135]
	v_add_f64 v[190:191], v[190:191], v[198:199]
	v_mul_f64 v[200:201], v[150:151], s[36:37]
	v_fma_f64 v[206:207], v[132:133], s[20:21], -v[204:205]
	v_add_f64 v[166:167], v[164:165], v[166:167]
	v_fmac_f64_e32 v[204:205], s[20:21], v[132:133]
	v_add_f64 v[164:165], v[96:97], v[212:213]
	v_add_f64 v[186:187], v[186:187], v[190:191]
	v_mul_f64 v[190:191], v[148:149], s[30:31]
	v_fma_f64 v[202:203], v[130:131], s[24:25], -v[200:201]
	v_fmac_f64_e32 v[200:201], s[24:25], v[130:131]
	v_add_f64 v[164:165], v[204:205], v[164:165]
	v_mul_f64 v[144:145], v[144:145], s[8:9]
	v_add_f64 v[90:91], v[98:99], v[90:91]
	v_add_f64 v[88:89], v[96:97], v[88:89]
	;; [unrolled: 1-line block ×3, first 2 shown]
	v_mul_f64 v[186:187], v[146:147], s[26:27]
	v_fma_f64 v[198:199], v[128:129], s[16:17], -v[190:191]
	v_add_f64 v[214:215], v[96:97], v[214:215]
	v_fmac_f64_e32 v[190:191], s[16:17], v[128:129]
	v_add_f64 v[164:165], v[200:201], v[164:165]
	v_mul_f64 v[142:143], v[142:143], s[14:15]
	v_fma_f64 v[196:197], s[0:1], v[124:125], v[144:145]
	v_fma_f64 v[124:125], v[124:125], s[0:1], -v[144:145]
	v_add_f64 v[90:91], v[90:91], v[94:95]
	v_add_f64 v[88:89], v[88:89], v[92:93]
	;; [unrolled: 1-line block ×3, first 2 shown]
	v_fma_f64 v[160:161], v[126:127], s[0:1], -v[186:187]
	v_add_f64 v[206:207], v[206:207], v[214:215]
	v_fmac_f64_e32 v[186:187], s[0:1], v[126:127]
	v_add_f64 v[164:165], v[190:191], v[164:165]
	v_mul_f64 v[140:141], v[140:141], s[18:19]
	v_fma_f64 v[190:191], s[12:13], v[122:123], v[142:143]
	v_fma_f64 v[122:123], v[122:123], s[12:13], -v[142:143]
	v_add_f64 v[124:125], v[98:99], v[124:125]
	v_add_f64 v[90:91], v[90:91], v[218:219]
	;; [unrolled: 1-line block ×5, first 2 shown]
	v_mul_f64 v[186:187], v[138:139], s[22:23]
	v_fma_f64 v[188:189], s[16:17], v[120:121], v[140:141]
	v_fma_f64 v[120:121], v[120:121], s[16:17], -v[140:141]
	v_add_f64 v[122:123], v[122:123], v[124:125]
	v_add_f64 v[90:91], v[90:91], v[222:223]
	;; [unrolled: 1-line block ×4, first 2 shown]
	v_mul_f64 v[184:185], v[136:137], s[28:29]
	v_fma_f64 v[138:139], s[20:21], v[118:119], v[186:187]
	v_mul_f64 v[178:179], v[178:179], s[8:9]
	v_fma_f64 v[118:119], v[118:119], s[20:21], -v[186:187]
	v_add_f64 v[120:121], v[120:121], v[122:123]
	v_add_f64 v[90:91], v[90:91], v[226:227]
	;; [unrolled: 1-line block ×4, first 2 shown]
	v_fma_f64 v[136:137], s[24:25], v[116:117], v[184:185]
	v_add_f64 v[196:197], v[98:99], v[196:197]
	v_mul_f64 v[176:177], v[176:177], s[14:15]
	v_fma_f64 v[198:199], v[134:135], s[0:1], -v[178:179]
	v_fma_f64 v[116:117], v[116:117], s[24:25], -v[184:185]
	v_add_f64 v[118:119], v[118:119], v[120:121]
	v_fmac_f64_e32 v[178:179], s[0:1], v[134:135]
	v_add_f64 v[90:91], v[90:91], v[242:243]
	v_add_f64 v[88:89], v[88:89], v[240:241]
	;; [unrolled: 1-line block ×3, first 2 shown]
	v_mul_f64 v[150:151], v[150:151], s[18:19]
	v_fma_f64 v[196:197], v[132:133], s[12:13], -v[176:177]
	v_add_f64 v[198:199], v[96:97], v[198:199]
	v_add_f64 v[118:119], v[116:117], v[118:119]
	v_fmac_f64_e32 v[176:177], s[12:13], v[132:133]
	v_add_f64 v[116:117], v[96:97], v[178:179]
	v_add_f64 v[90:91], v[90:91], v[238:239]
	;; [unrolled: 1-line block ×4, first 2 shown]
	v_mul_f64 v[148:149], v[148:149], s[22:23]
	v_fma_f64 v[190:191], v[130:131], s[16:17], -v[150:151]
	v_add_f64 v[196:197], v[196:197], v[198:199]
	v_fmac_f64_e32 v[150:151], s[16:17], v[130:131]
	v_add_f64 v[116:117], v[176:177], v[116:117]
	v_add_f64 v[90:91], v[90:91], v[234:235]
	;; [unrolled: 1-line block ×4, first 2 shown]
	v_mul_f64 v[146:147], v[146:147], s[28:29]
	v_fma_f64 v[188:189], v[128:129], s[20:21], -v[148:149]
	v_add_f64 v[190:191], v[190:191], v[196:197]
	v_fmac_f64_e32 v[148:149], s[20:21], v[128:129]
	v_add_f64 v[116:117], v[150:151], v[116:117]
	v_add_f64 v[90:91], v[90:91], v[230:231]
	v_add_f64 v[88:89], v[88:89], v[228:229]
	v_accvgpr_read_b32 v92, a21
	v_add_f64 v[138:139], v[136:137], v[138:139]
	v_fma_f64 v[136:137], v[126:127], s[24:25], -v[146:147]
	v_add_f64 v[188:189], v[188:189], v[190:191]
	v_fmac_f64_e32 v[146:147], s[24:25], v[126:127]
	v_add_f64 v[116:117], v[148:149], v[116:117]
	v_add_f64 v[90:91], v[90:91], v[246:247]
	;; [unrolled: 1-line block ×3, first 2 shown]
	v_lshlrev_b32_e32 v92, 4, v92
	v_add_f64 v[136:137], v[136:137], v[188:189]
	v_add_f64 v[116:117], v[146:147], v[116:117]
	ds_write_b128 v92, v[88:91]
	ds_write_b128 v92, v[116:119] offset:16
	ds_write_b128 v92, v[164:167] offset:32
	ds_write_b128 v92, v[156:159] offset:48
	ds_write_b128 v92, v[112:115] offset:64
	ds_write_b128 v92, v[104:107] offset:80
	ds_write_b128 v92, v[100:103] offset:96
	ds_write_b128 v92, v[108:111] offset:112
	ds_write_b128 v92, v[152:155] offset:128
	ds_write_b128 v92, v[160:163] offset:144
	ds_write_b128 v92, v[136:139] offset:160
.LBB0_13:
	s_or_b64 exec, exec, s[38:39]
	s_waitcnt lgkmcnt(0)
	; wave barrier
	s_waitcnt lgkmcnt(0)
	ds_read_b128 v[92:95], v208 offset:4400
	ds_read_b128 v[88:91], v208 offset:3520
	v_accvgpr_read_b32 v96, a126
	v_accvgpr_read_b32 v98, a128
	v_accvgpr_read_b32 v99, a129
	v_accvgpr_read_b32 v97, a127
	s_waitcnt lgkmcnt(1)
	v_mul_f64 v[190:191], v[98:99], v[94:95]
	v_fmac_f64_e32 v[190:191], v[96:97], v[92:93]
	v_mul_f64 v[92:93], v[98:99], v[92:93]
	v_fma_f64 v[188:189], v[96:97], v[94:95], -v[92:93]
	ds_read_b128 v[92:95], v208 offset:8800
	ds_read_b128 v[96:99], v208 offset:9680
	v_accvgpr_read_b32 v100, a134
	v_accvgpr_read_b32 v102, a136
	v_accvgpr_read_b32 v103, a137
	v_accvgpr_read_b32 v101, a135
	s_waitcnt lgkmcnt(1)
	v_mul_f64 v[198:199], v[102:103], v[94:95]
	v_fmac_f64_e32 v[198:199], v[100:101], v[92:93]
	v_mul_f64 v[92:93], v[102:103], v[92:93]
	v_fma_f64 v[196:197], v[100:101], v[94:95], -v[92:93]
	;; [unrolled: 11-line block ×5, first 2 shown]
	v_accvgpr_read_b32 v112, a150
	v_accvgpr_read_b32 v114, a152
	;; [unrolled: 1-line block ×4, first 2 shown]
	v_mul_f64 v[166:167], v[114:115], v[98:99]
	v_mul_f64 v[92:93], v[114:115], v[96:97]
	v_fmac_f64_e32 v[166:167], v[112:113], v[96:97]
	v_fma_f64 v[164:165], v[112:113], v[98:99], -v[92:93]
	ds_read_b128 v[92:95], v208 offset:14080
	ds_read_b128 v[96:99], v208 offset:14960
	v_accvgpr_read_b32 v112, a146
	v_accvgpr_read_b32 v114, a148
	;; [unrolled: 1-line block ×4, first 2 shown]
	s_waitcnt lgkmcnt(1)
	v_mul_f64 v[178:179], v[114:115], v[94:95]
	v_fmac_f64_e32 v[178:179], v[112:113], v[92:93]
	v_mul_f64 v[92:93], v[114:115], v[92:93]
	v_fma_f64 v[176:177], v[112:113], v[94:95], -v[92:93]
	v_accvgpr_read_b32 v112, a142
	v_accvgpr_read_b32 v114, a144
	;; [unrolled: 1-line block ×4, first 2 shown]
	v_mul_f64 v[186:187], v[114:115], v[106:107]
	v_mul_f64 v[92:93], v[114:115], v[104:105]
	v_fmac_f64_e32 v[186:187], v[112:113], v[104:105]
	v_fma_f64 v[184:185], v[112:113], v[106:107], -v[92:93]
	v_accvgpr_read_b32 v104, a158
	v_accvgpr_read_b32 v106, a160
	;; [unrolled: 1-line block ×4, first 2 shown]
	v_mul_f64 v[146:147], v[106:107], v[110:111]
	v_mul_f64 v[92:93], v[106:107], v[108:109]
	v_fmac_f64_e32 v[146:147], v[104:105], v[108:109]
	v_fma_f64 v[144:145], v[104:105], v[110:111], -v[92:93]
	ds_read_b128 v[92:95], v208 offset:10560
	ds_read_b128 v[104:107], v208 offset:11440
	v_accvgpr_read_b32 v108, a166
	v_accvgpr_read_b32 v110, a168
	;; [unrolled: 1-line block ×4, first 2 shown]
	s_waitcnt lgkmcnt(1)
	v_mul_f64 v[150:151], v[110:111], v[94:95]
	v_fmac_f64_e32 v[150:151], v[108:109], v[92:93]
	v_mul_f64 v[92:93], v[110:111], v[92:93]
	v_fma_f64 v[148:149], v[108:109], v[94:95], -v[92:93]
	v_accvgpr_read_b32 v108, a162
	v_accvgpr_read_b32 v110, a164
	;; [unrolled: 1-line block ×4, first 2 shown]
	v_mul_f64 v[154:155], v[110:111], v[98:99]
	v_mul_f64 v[92:93], v[110:111], v[96:97]
	v_fmac_f64_e32 v[154:155], v[108:109], v[96:97]
	v_fma_f64 v[152:153], v[108:109], v[98:99], -v[92:93]
	ds_read_b128 v[92:95], v208 offset:19360
	ds_read_b128 v[96:99], v208 offset:20240
	v_accvgpr_read_b32 v108, a154
	v_accvgpr_read_b32 v110, a156
	;; [unrolled: 1-line block ×4, first 2 shown]
	s_waitcnt lgkmcnt(1)
	v_mul_f64 v[158:159], v[110:111], v[94:95]
	v_fmac_f64_e32 v[158:159], v[108:109], v[92:93]
	v_mul_f64 v[92:93], v[110:111], v[92:93]
	v_fma_f64 v[156:157], v[108:109], v[94:95], -v[92:93]
	ds_read_b128 v[92:95], v208 offset:7040
	ds_read_b128 v[108:111], v208 offset:7920
	v_accvgpr_read_b32 v112, a170
	v_accvgpr_read_b32 v114, a172
	;; [unrolled: 1-line block ×4, first 2 shown]
	s_waitcnt lgkmcnt(1)
	v_mul_f64 v[130:131], v[114:115], v[94:95]
	v_fmac_f64_e32 v[130:131], v[112:113], v[92:93]
	v_mul_f64 v[92:93], v[114:115], v[92:93]
	v_fma_f64 v[128:129], v[112:113], v[94:95], -v[92:93]
	v_accvgpr_read_b32 v112, a182
	v_accvgpr_read_b32 v114, a184
	v_accvgpr_read_b32 v115, a185
	v_accvgpr_read_b32 v113, a183
	v_mul_f64 v[134:135], v[114:115], v[106:107]
	v_mul_f64 v[92:93], v[114:115], v[104:105]
	v_fmac_f64_e32 v[134:135], v[112:113], v[104:105]
	v_fma_f64 v[132:133], v[112:113], v[106:107], -v[92:93]
	ds_read_b128 v[92:95], v208 offset:15840
	ds_read_b128 v[104:107], v208 offset:16720
	v_accvgpr_read_b32 v112, a178
	v_accvgpr_read_b32 v114, a180
	;; [unrolled: 1-line block ×4, first 2 shown]
	s_waitcnt lgkmcnt(1)
	v_mul_f64 v[138:139], v[114:115], v[94:95]
	v_fmac_f64_e32 v[138:139], v[112:113], v[92:93]
	v_mul_f64 v[92:93], v[114:115], v[92:93]
	v_fma_f64 v[136:137], v[112:113], v[94:95], -v[92:93]
	v_accvgpr_read_b32 v112, a174
	v_accvgpr_read_b32 v114, a176
	;; [unrolled: 1-line block ×4, first 2 shown]
	v_mul_f64 v[142:143], v[114:115], v[98:99]
	v_fmac_f64_e32 v[142:143], v[112:113], v[96:97]
	v_mul_f64 v[92:93], v[114:115], v[96:97]
	v_accvgpr_read_b32 v94, a188
	v_accvgpr_read_b32 v96, a190
	;; [unrolled: 1-line block ×3, first 2 shown]
	v_fma_f64 v[140:141], v[112:113], v[98:99], -v[92:93]
	v_accvgpr_read_b32 v95, a189
	v_mul_f64 v[114:115], v[96:97], v[110:111]
	v_mul_f64 v[92:93], v[96:97], v[108:109]
	v_fmac_f64_e32 v[114:115], v[94:95], v[108:109]
	v_fma_f64 v[112:113], v[94:95], v[110:111], -v[92:93]
	v_accvgpr_read_b32 v94, a208
	v_accvgpr_read_b32 v96, a210
	;; [unrolled: 1-line block ×4, first 2 shown]
	v_mul_f64 v[118:119], v[96:97], v[102:103]
	v_mul_f64 v[92:93], v[96:97], v[100:101]
	v_fmac_f64_e32 v[118:119], v[94:95], v[100:101]
	v_fma_f64 v[116:117], v[94:95], v[102:103], -v[92:93]
	v_accvgpr_read_b32 v94, a212
	v_accvgpr_read_b32 v96, a214
	;; [unrolled: 1-line block ×4, first 2 shown]
	s_waitcnt lgkmcnt(0)
	v_mul_f64 v[122:123], v[96:97], v[106:107]
	v_mul_f64 v[92:93], v[96:97], v[104:105]
	v_fmac_f64_e32 v[122:123], v[94:95], v[104:105]
	v_fma_f64 v[120:121], v[94:95], v[106:107], -v[92:93]
	ds_read_b128 v[92:95], v208 offset:21120
	v_accvgpr_read_b32 v96, a216
	ds_read_b128 v[104:107], v208
	ds_read_b128 v[100:103], v208 offset:880
	v_accvgpr_read_b32 v98, a218
	v_accvgpr_read_b32 v99, a219
	;; [unrolled: 1-line block ×3, first 2 shown]
	s_waitcnt lgkmcnt(2)
	v_mul_f64 v[126:127], v[98:99], v[94:95]
	v_fmac_f64_e32 v[126:127], v[96:97], v[92:93]
	v_mul_f64 v[92:93], v[98:99], v[92:93]
	v_fma_f64 v[124:125], v[96:97], v[94:95], -v[92:93]
	s_waitcnt lgkmcnt(1)
	v_add_f64 v[92:93], v[104:105], v[190:191]
	v_add_f64 v[94:95], v[106:107], v[188:189]
	;; [unrolled: 1-line block ×8, first 2 shown]
	v_accvgpr_read_b32 v228, a221
	ds_read_b128 v[96:99], v208 offset:1760
	ds_read_b128 v[92:95], v208 offset:2640
	s_waitcnt lgkmcnt(0)
	; wave barrier
	s_waitcnt lgkmcnt(0)
	ds_write_b128 v228, v[108:111]
	v_add_f64 v[108:109], v[190:191], -v[198:199]
	v_add_f64 v[110:111], v[206:207], -v[202:203]
	v_add_f64 v[216:217], v[108:109], v[110:111]
	v_add_f64 v[108:109], v[198:199], v[202:203]
	;; [unrolled: 1-line block ×3, first 2 shown]
	s_mov_b32 s14, 0x134454ff
	v_fma_f64 v[108:109], -0.5, v[108:109], v[104:105]
	v_fma_f64 v[110:111], -0.5, v[110:111], v[106:107]
	v_add_f64 v[212:213], v[188:189], -v[196:197]
	v_add_f64 v[214:215], v[204:205], -v[200:201]
	s_mov_b32 s15, 0xbfee6f0e
	s_mov_b32 s0, 0x4755a5e
	v_add_f64 v[220:221], v[188:189], -v[204:205]
	s_mov_b32 s13, 0x3fee6f0e
	s_mov_b32 s12, s14
	v_add_f64 v[224:225], v[190:191], -v[206:207]
	v_add_f64 v[218:219], v[212:213], v[214:215]
	s_mov_b32 s1, 0xbfe2cf23
	v_add_f64 v[222:223], v[196:197], -v[200:201]
	v_fma_f64 v[212:213], s[14:15], v[220:221], v[108:109]
	s_mov_b32 s8, 0x372fe950
	s_mov_b32 s17, 0x3fe2cf23
	;; [unrolled: 1-line block ×3, first 2 shown]
	v_fma_f64 v[214:215], s[12:13], v[224:225], v[110:111]
	v_add_f64 v[226:227], v[198:199], -v[202:203]
	v_fmac_f64_e32 v[212:213], s[0:1], v[222:223]
	s_mov_b32 s9, 0x3fd3c6ef
	v_fmac_f64_e32 v[214:215], s[16:17], v[226:227]
	v_fmac_f64_e32 v[212:213], s[8:9], v[216:217]
	v_fmac_f64_e32 v[214:215], s[8:9], v[218:219]
	ds_write_b128 v228, v[212:215] offset:176
	v_add_f64 v[212:213], v[190:191], v[206:207]
	v_add_f64 v[190:191], v[198:199], -v[190:191]
	v_add_f64 v[198:199], v[202:203], -v[206:207]
	v_add_f64 v[198:199], v[190:191], v[198:199]
	v_add_f64 v[190:191], v[188:189], v[204:205]
	v_fmac_f64_e32 v[104:105], -0.5, v[212:213]
	v_fmac_f64_e32 v[106:107], -0.5, v[190:191]
	v_add_f64 v[188:189], v[196:197], -v[188:189]
	v_add_f64 v[190:191], v[200:201], -v[204:205]
	v_add_f64 v[196:197], v[188:189], v[190:191]
	v_fma_f64 v[188:189], s[12:13], v[222:223], v[104:105]
	v_fma_f64 v[190:191], s[14:15], v[226:227], v[106:107]
	v_fmac_f64_e32 v[104:105], s[14:15], v[222:223]
	v_fmac_f64_e32 v[106:107], s[12:13], v[226:227]
	v_fmac_f64_e32 v[104:105], s[16:17], v[220:221]
	v_fmac_f64_e32 v[106:107], s[0:1], v[224:225]
	v_fmac_f64_e32 v[104:105], s[8:9], v[198:199]
	v_fmac_f64_e32 v[106:107], s[8:9], v[196:197]
	ds_write_b128 v228, v[104:107] offset:528
	v_add_f64 v[104:105], v[100:101], v[162:163]
	v_add_f64 v[106:107], v[102:103], v[160:161]
	v_fmac_f64_e32 v[108:109], s[12:13], v[220:221]
	v_fmac_f64_e32 v[110:111], s[14:15], v[224:225]
	v_add_f64 v[104:105], v[104:105], v[166:167]
	v_add_f64 v[106:107], v[106:107], v[164:165]
	v_fmac_f64_e32 v[188:189], s[0:1], v[220:221]
	v_fmac_f64_e32 v[190:191], s[16:17], v[224:225]
	v_fmac_f64_e32 v[108:109], s[16:17], v[222:223]
	v_fmac_f64_e32 v[110:111], s[0:1], v[226:227]
	v_add_f64 v[104:105], v[104:105], v[178:179]
	v_add_f64 v[106:107], v[106:107], v[176:177]
	v_fmac_f64_e32 v[188:189], s[8:9], v[198:199]
	v_fmac_f64_e32 v[190:191], s[8:9], v[196:197]
	v_fmac_f64_e32 v[108:109], s[8:9], v[216:217]
	v_fmac_f64_e32 v[110:111], s[8:9], v[218:219]
	v_add_f64 v[104:105], v[104:105], v[186:187]
	v_add_f64 v[106:107], v[106:107], v[184:185]
	v_accvgpr_read_b32 v204, a220
	ds_write_b128 v228, v[188:191] offset:352
	ds_write_b128 v228, v[108:111] offset:704
	ds_write_b128 v204, v[104:107]
	v_add_f64 v[104:105], v[162:163], -v[166:167]
	v_add_f64 v[106:107], v[186:187], -v[178:179]
	v_add_f64 v[188:189], v[104:105], v[106:107]
	v_add_f64 v[104:105], v[166:167], v[178:179]
	v_add_f64 v[106:107], v[164:165], v[176:177]
	v_fma_f64 v[104:105], -0.5, v[104:105], v[100:101]
	v_fma_f64 v[106:107], -0.5, v[106:107], v[102:103]
	v_add_f64 v[108:109], v[160:161], -v[164:165]
	v_add_f64 v[110:111], v[184:185], -v[176:177]
	v_add_f64 v[196:197], v[160:161], -v[184:185]
	v_add_f64 v[200:201], v[162:163], -v[186:187]
	v_add_f64 v[190:191], v[108:109], v[110:111]
	v_add_f64 v[198:199], v[164:165], -v[176:177]
	v_fma_f64 v[108:109], s[14:15], v[196:197], v[104:105]
	v_fma_f64 v[110:111], s[12:13], v[200:201], v[106:107]
	v_add_f64 v[202:203], v[166:167], -v[178:179]
	v_fmac_f64_e32 v[108:109], s[0:1], v[198:199]
	v_fmac_f64_e32 v[110:111], s[16:17], v[202:203]
	v_fmac_f64_e32 v[108:109], s[8:9], v[188:189]
	v_fmac_f64_e32 v[110:111], s[8:9], v[190:191]
	ds_write_b128 v204, v[108:111] offset:176
	v_add_f64 v[108:109], v[162:163], v[186:187]
	v_fmac_f64_e32 v[100:101], -0.5, v[108:109]
	v_add_f64 v[108:109], v[166:167], -v[162:163]
	v_add_f64 v[110:111], v[178:179], -v[186:187]
	v_add_f64 v[162:163], v[108:109], v[110:111]
	v_add_f64 v[108:109], v[160:161], v[184:185]
	v_fmac_f64_e32 v[102:103], -0.5, v[108:109]
	v_add_f64 v[108:109], v[164:165], -v[160:161]
	v_add_f64 v[110:111], v[176:177], -v[184:185]
	v_add_f64 v[160:161], v[108:109], v[110:111]
	v_fma_f64 v[108:109], s[12:13], v[198:199], v[100:101]
	v_fma_f64 v[110:111], s[14:15], v[202:203], v[102:103]
	v_fmac_f64_e32 v[100:101], s[14:15], v[198:199]
	v_fmac_f64_e32 v[102:103], s[12:13], v[202:203]
	v_fmac_f64_e32 v[100:101], s[16:17], v[196:197]
	v_fmac_f64_e32 v[102:103], s[0:1], v[200:201]
	v_fmac_f64_e32 v[100:101], s[8:9], v[162:163]
	v_fmac_f64_e32 v[102:103], s[8:9], v[160:161]
	ds_write_b128 v204, v[100:103] offset:528
	v_add_f64 v[100:101], v[96:97], v[146:147]
	v_add_f64 v[102:103], v[98:99], v[144:145]
	v_fmac_f64_e32 v[104:105], s[12:13], v[196:197]
	v_fmac_f64_e32 v[106:107], s[14:15], v[200:201]
	v_add_f64 v[100:101], v[100:101], v[150:151]
	v_add_f64 v[102:103], v[102:103], v[148:149]
	v_fmac_f64_e32 v[108:109], s[0:1], v[196:197]
	v_fmac_f64_e32 v[110:111], s[16:17], v[200:201]
	v_fmac_f64_e32 v[104:105], s[16:17], v[198:199]
	v_fmac_f64_e32 v[106:107], s[0:1], v[202:203]
	v_add_f64 v[100:101], v[100:101], v[154:155]
	v_add_f64 v[102:103], v[102:103], v[152:153]
	v_fmac_f64_e32 v[108:109], s[8:9], v[162:163]
	v_fmac_f64_e32 v[110:111], s[8:9], v[160:161]
	v_fmac_f64_e32 v[104:105], s[8:9], v[188:189]
	v_fmac_f64_e32 v[106:107], s[8:9], v[190:191]
	v_add_f64 v[100:101], v[100:101], v[158:159]
	v_add_f64 v[102:103], v[102:103], v[156:157]
	v_accvgpr_read_b32 v176, a187
	ds_write_b128 v204, v[108:111] offset:352
	ds_write_b128 v204, v[104:107] offset:704
	ds_write_b128 v176, v[100:103]
	v_add_f64 v[100:101], v[146:147], -v[150:151]
	v_add_f64 v[102:103], v[158:159], -v[154:155]
	v_add_f64 v[108:109], v[100:101], v[102:103]
	v_add_f64 v[100:101], v[150:151], v[154:155]
	v_add_f64 v[102:103], v[148:149], v[152:153]
	v_fma_f64 v[100:101], -0.5, v[100:101], v[96:97]
	v_fma_f64 v[102:103], -0.5, v[102:103], v[98:99]
	v_add_f64 v[104:105], v[144:145], -v[148:149]
	v_add_f64 v[106:107], v[156:157], -v[152:153]
	v_add_f64 v[160:161], v[144:145], -v[156:157]
	v_add_f64 v[164:165], v[146:147], -v[158:159]
	v_add_f64 v[110:111], v[104:105], v[106:107]
	v_add_f64 v[162:163], v[148:149], -v[152:153]
	v_fma_f64 v[104:105], s[14:15], v[160:161], v[100:101]
	v_fma_f64 v[106:107], s[12:13], v[164:165], v[102:103]
	v_add_f64 v[166:167], v[150:151], -v[154:155]
	v_fmac_f64_e32 v[104:105], s[0:1], v[162:163]
	v_fmac_f64_e32 v[106:107], s[16:17], v[166:167]
	v_fmac_f64_e32 v[104:105], s[8:9], v[108:109]
	v_fmac_f64_e32 v[106:107], s[8:9], v[110:111]
	ds_write_b128 v176, v[104:107] offset:176
	v_add_f64 v[104:105], v[146:147], v[158:159]
	v_fmac_f64_e32 v[96:97], -0.5, v[104:105]
	v_add_f64 v[104:105], v[150:151], -v[146:147]
	v_add_f64 v[106:107], v[154:155], -v[158:159]
	v_add_f64 v[146:147], v[104:105], v[106:107]
	v_add_f64 v[104:105], v[144:145], v[156:157]
	v_fmac_f64_e32 v[98:99], -0.5, v[104:105]
	v_add_f64 v[104:105], v[148:149], -v[144:145]
	v_add_f64 v[106:107], v[152:153], -v[156:157]
	v_add_f64 v[144:145], v[104:105], v[106:107]
	v_fma_f64 v[104:105], s[12:13], v[162:163], v[96:97]
	v_fma_f64 v[106:107], s[14:15], v[166:167], v[98:99]
	v_fmac_f64_e32 v[96:97], s[14:15], v[162:163]
	v_fmac_f64_e32 v[98:99], s[12:13], v[166:167]
	v_fmac_f64_e32 v[96:97], s[16:17], v[160:161]
	v_fmac_f64_e32 v[98:99], s[0:1], v[164:165]
	v_fmac_f64_e32 v[96:97], s[8:9], v[146:147]
	v_fmac_f64_e32 v[98:99], s[8:9], v[144:145]
	ds_write_b128 v176, v[96:99] offset:528
	v_add_f64 v[96:97], v[92:93], v[130:131]
	v_add_f64 v[98:99], v[94:95], v[128:129]
	v_fmac_f64_e32 v[100:101], s[12:13], v[160:161]
	v_fmac_f64_e32 v[102:103], s[14:15], v[164:165]
	v_add_f64 v[96:97], v[96:97], v[134:135]
	v_add_f64 v[98:99], v[98:99], v[132:133]
	v_fmac_f64_e32 v[104:105], s[0:1], v[160:161]
	v_fmac_f64_e32 v[106:107], s[16:17], v[164:165]
	v_fmac_f64_e32 v[100:101], s[16:17], v[162:163]
	v_fmac_f64_e32 v[102:103], s[0:1], v[166:167]
	v_add_f64 v[96:97], v[96:97], v[138:139]
	v_add_f64 v[98:99], v[98:99], v[136:137]
	v_fmac_f64_e32 v[104:105], s[8:9], v[146:147]
	v_fmac_f64_e32 v[106:107], s[8:9], v[144:145]
	v_fmac_f64_e32 v[100:101], s[8:9], v[108:109]
	v_fmac_f64_e32 v[102:103], s[8:9], v[110:111]
	v_add_f64 v[96:97], v[96:97], v[142:143]
	v_add_f64 v[98:99], v[98:99], v[140:141]
	v_accvgpr_read_b32 v148, a186
	ds_write_b128 v176, v[104:107] offset:352
	ds_write_b128 v176, v[100:103] offset:704
	ds_write_b128 v148, v[96:99]
	v_add_f64 v[96:97], v[130:131], -v[134:135]
	v_add_f64 v[98:99], v[142:143], -v[138:139]
	v_add_f64 v[104:105], v[96:97], v[98:99]
	v_add_f64 v[96:97], v[134:135], v[138:139]
	v_add_f64 v[98:99], v[132:133], v[136:137]
	v_fma_f64 v[96:97], -0.5, v[96:97], v[92:93]
	v_fma_f64 v[98:99], -0.5, v[98:99], v[94:95]
	v_add_f64 v[100:101], v[128:129], -v[132:133]
	v_add_f64 v[102:103], v[140:141], -v[136:137]
	v_add_f64 v[108:109], v[128:129], -v[140:141]
	v_add_f64 v[144:145], v[130:131], -v[142:143]
	v_add_f64 v[106:107], v[100:101], v[102:103]
	v_add_f64 v[110:111], v[132:133], -v[136:137]
	v_fma_f64 v[100:101], s[14:15], v[108:109], v[96:97]
	v_fma_f64 v[102:103], s[12:13], v[144:145], v[98:99]
	v_add_f64 v[146:147], v[134:135], -v[138:139]
	v_fmac_f64_e32 v[100:101], s[0:1], v[110:111]
	v_fmac_f64_e32 v[102:103], s[16:17], v[146:147]
	v_fmac_f64_e32 v[100:101], s[8:9], v[104:105]
	v_fmac_f64_e32 v[102:103], s[8:9], v[106:107]
	ds_write_b128 v148, v[100:103] offset:176
	v_add_f64 v[100:101], v[130:131], v[142:143]
	v_fmac_f64_e32 v[92:93], -0.5, v[100:101]
	v_add_f64 v[100:101], v[134:135], -v[130:131]
	v_add_f64 v[102:103], v[138:139], -v[142:143]
	v_add_f64 v[130:131], v[100:101], v[102:103]
	v_add_f64 v[100:101], v[128:129], v[140:141]
	v_fmac_f64_e32 v[94:95], -0.5, v[100:101]
	v_add_f64 v[100:101], v[132:133], -v[128:129]
	v_add_f64 v[102:103], v[136:137], -v[140:141]
	v_add_f64 v[128:129], v[100:101], v[102:103]
	v_fma_f64 v[100:101], s[12:13], v[110:111], v[92:93]
	v_fma_f64 v[102:103], s[14:15], v[146:147], v[94:95]
	v_fmac_f64_e32 v[92:93], s[14:15], v[110:111]
	v_fmac_f64_e32 v[94:95], s[12:13], v[146:147]
	;; [unrolled: 1-line block ×6, first 2 shown]
	ds_write_b128 v148, v[92:95] offset:528
	v_add_f64 v[92:93], v[88:89], v[114:115]
	v_add_f64 v[94:95], v[90:91], v[112:113]
	v_fmac_f64_e32 v[96:97], s[12:13], v[108:109]
	v_fmac_f64_e32 v[98:99], s[14:15], v[144:145]
	v_add_f64 v[92:93], v[92:93], v[118:119]
	v_add_f64 v[94:95], v[94:95], v[116:117]
	v_fmac_f64_e32 v[100:101], s[0:1], v[108:109]
	v_fmac_f64_e32 v[102:103], s[16:17], v[144:145]
	;; [unrolled: 1-line block ×4, first 2 shown]
	v_add_f64 v[92:93], v[92:93], v[122:123]
	v_add_f64 v[94:95], v[94:95], v[120:121]
	v_fmac_f64_e32 v[100:101], s[8:9], v[130:131]
	v_fmac_f64_e32 v[102:103], s[8:9], v[128:129]
	;; [unrolled: 1-line block ×4, first 2 shown]
	v_add_f64 v[92:93], v[92:93], v[126:127]
	v_add_f64 v[94:95], v[94:95], v[124:125]
	ds_write_b128 v148, v[100:103] offset:352
	ds_write_b128 v148, v[96:99] offset:704
	ds_write_b128 v251, v[92:95]
	v_add_f64 v[92:93], v[114:115], -v[118:119]
	v_add_f64 v[94:95], v[126:127], -v[122:123]
	v_add_f64 v[100:101], v[92:93], v[94:95]
	v_add_f64 v[92:93], v[118:119], v[122:123]
	;; [unrolled: 1-line block ×3, first 2 shown]
	v_fma_f64 v[92:93], -0.5, v[92:93], v[88:89]
	v_fma_f64 v[94:95], -0.5, v[94:95], v[90:91]
	v_add_f64 v[96:97], v[112:113], -v[116:117]
	v_add_f64 v[98:99], v[124:125], -v[120:121]
	;; [unrolled: 1-line block ×4, first 2 shown]
	v_add_f64 v[102:103], v[96:97], v[98:99]
	v_add_f64 v[106:107], v[116:117], -v[120:121]
	v_fma_f64 v[96:97], s[14:15], v[104:105], v[92:93]
	v_fma_f64 v[98:99], s[12:13], v[108:109], v[94:95]
	v_add_f64 v[110:111], v[118:119], -v[122:123]
	v_fmac_f64_e32 v[96:97], s[0:1], v[106:107]
	v_fmac_f64_e32 v[98:99], s[16:17], v[110:111]
	;; [unrolled: 1-line block ×4, first 2 shown]
	ds_write_b128 v251, v[96:99] offset:176
	v_add_f64 v[96:97], v[114:115], v[126:127]
	v_fmac_f64_e32 v[88:89], -0.5, v[96:97]
	v_add_f64 v[96:97], v[118:119], -v[114:115]
	v_add_f64 v[98:99], v[122:123], -v[126:127]
	v_add_f64 v[114:115], v[96:97], v[98:99]
	v_add_f64 v[96:97], v[112:113], v[124:125]
	v_fmac_f64_e32 v[90:91], -0.5, v[96:97]
	v_add_f64 v[96:97], v[116:117], -v[112:113]
	v_add_f64 v[98:99], v[120:121], -v[124:125]
	v_add_f64 v[112:113], v[96:97], v[98:99]
	v_fma_f64 v[96:97], s[12:13], v[106:107], v[88:89]
	v_fma_f64 v[98:99], s[14:15], v[110:111], v[90:91]
	v_fmac_f64_e32 v[92:93], s[12:13], v[104:105]
	v_fmac_f64_e32 v[88:89], s[14:15], v[106:107]
	;; [unrolled: 1-line block ×16, first 2 shown]
	ds_write_b128 v251, v[96:99] offset:352
	ds_write_b128 v251, v[88:91] offset:528
	;; [unrolled: 1-line block ×3, first 2 shown]
	s_waitcnt lgkmcnt(0)
	; wave barrier
	s_waitcnt lgkmcnt(0)
	ds_read_b128 v[92:95], v208 offset:4400
	ds_read_b128 v[88:91], v208 offset:3520
	v_accvgpr_read_b32 v136, a200
	v_accvgpr_read_b32 v138, a202
	;; [unrolled: 1-line block ×3, first 2 shown]
	s_waitcnt lgkmcnt(1)
	v_mul_f64 v[178:179], v[194:195], v[94:95]
	v_fmac_f64_e32 v[178:179], v[192:193], v[92:93]
	v_mul_f64 v[92:93], v[194:195], v[92:93]
	v_fma_f64 v[176:177], v[192:193], v[94:95], -v[92:93]
	ds_read_b128 v[92:95], v208 offset:5280
	ds_read_b128 v[96:99], v208 offset:6160
	v_accvgpr_read_b32 v137, a201
	v_accvgpr_read_b32 v154, a226
	;; [unrolled: 1-line block ×3, first 2 shown]
	s_waitcnt lgkmcnt(1)
	v_mul_f64 v[116:117], v[194:195], v[94:95]
	v_fmac_f64_e32 v[116:117], v[192:193], v[92:93]
	v_mul_f64 v[92:93], v[194:195], v[92:93]
	v_fma_f64 v[104:105], v[192:193], v[94:95], -v[92:93]
	ds_read_b128 v[92:95], v208 offset:8800
	ds_read_b128 v[100:103], v208 offset:9680
	v_accvgpr_read_b32 v157, a229
	v_accvgpr_read_b32 v155, a227
	s_waitcnt lgkmcnt(1)
	v_mul_f64 v[186:187], v[182:183], v[94:95]
	v_fmac_f64_e32 v[186:187], v[180:181], v[92:93]
	v_mul_f64 v[92:93], v[182:183], v[92:93]
	v_fma_f64 v[184:185], v[180:181], v[94:95], -v[92:93]
	s_waitcnt lgkmcnt(0)
	v_mul_f64 v[132:133], v[182:183], v[102:103]
	v_mul_f64 v[92:93], v[182:183], v[100:101]
	v_fmac_f64_e32 v[132:133], v[180:181], v[100:101]
	v_fma_f64 v[108:109], v[180:181], v[102:103], -v[92:93]
	ds_read_b128 v[92:95], v208 offset:13200
	ds_read_b128 v[100:103], v208 offset:12320
	s_waitcnt lgkmcnt(1)
	v_mul_f64 v[182:183], v[174:175], v[94:95]
	v_fmac_f64_e32 v[182:183], v[172:173], v[92:93]
	v_mul_f64 v[92:93], v[174:175], v[92:93]
	v_fma_f64 v[180:181], v[172:173], v[94:95], -v[92:93]
	ds_read_b128 v[92:95], v208 offset:14080
	ds_read_b128 v[122:125], v208 offset:14960
	v_add_f64 v[194:195], v[184:185], -v[180:181]
	v_add_f64 v[198:199], v[186:187], -v[182:183]
	s_waitcnt lgkmcnt(1)
	v_mul_f64 v[164:165], v[174:175], v[94:95]
	v_fmac_f64_e32 v[164:165], v[172:173], v[92:93]
	v_mul_f64 v[92:93], v[174:175], v[92:93]
	v_fma_f64 v[118:119], v[172:173], v[94:95], -v[92:93]
	ds_read_b128 v[92:95], v208 offset:17600
	ds_read_b128 v[110:113], v208 offset:18480
	s_waitcnt lgkmcnt(2)
	v_mul_f64 v[128:129], v[138:139], v[124:125]
	v_fmac_f64_e32 v[128:129], v[136:137], v[122:123]
	s_waitcnt lgkmcnt(1)
	v_mul_f64 v[174:175], v[170:171], v[94:95]
	v_fmac_f64_e32 v[174:175], v[168:169], v[92:93]
	v_mul_f64 v[92:93], v[170:171], v[92:93]
	v_fma_f64 v[172:173], v[168:169], v[94:95], -v[92:93]
	s_waitcnt lgkmcnt(0)
	v_mul_f64 v[166:167], v[170:171], v[112:113]
	v_mul_f64 v[92:93], v[170:171], v[110:111]
	v_fmac_f64_e32 v[166:167], v[168:169], v[110:111]
	v_fma_f64 v[134:135], v[168:169], v[112:113], -v[92:93]
	v_accvgpr_read_b32 v110, a204
	v_accvgpr_read_b32 v112, a206
	;; [unrolled: 1-line block ×4, first 2 shown]
	v_mul_f64 v[106:107], v[112:113], v[98:99]
	v_mul_f64 v[92:93], v[112:113], v[96:97]
	v_fmac_f64_e32 v[106:107], v[110:111], v[96:97]
	v_fma_f64 v[110:111], v[110:111], v[98:99], -v[92:93]
	ds_read_b128 v[92:95], v208 offset:10560
	ds_read_b128 v[96:99], v208 offset:11440
	v_accvgpr_read_b32 v112, a196
	v_accvgpr_read_b32 v114, a198
	;; [unrolled: 1-line block ×4, first 2 shown]
	s_waitcnt lgkmcnt(1)
	v_mul_f64 v[120:121], v[114:115], v[94:95]
	v_fmac_f64_e32 v[120:121], v[112:113], v[92:93]
	v_mul_f64 v[92:93], v[114:115], v[92:93]
	v_fma_f64 v[112:113], v[112:113], v[94:95], -v[92:93]
	v_mul_f64 v[92:93], v[138:139], v[122:123]
	v_fma_f64 v[114:115], v[136:137], v[124:125], -v[92:93]
	ds_read_b128 v[92:95], v208 offset:19360
	ds_read_b128 v[146:149], v208 offset:20240
	v_accvgpr_read_b32 v122, a192
	v_accvgpr_read_b32 v124, a194
	;; [unrolled: 1-line block ×4, first 2 shown]
	s_waitcnt lgkmcnt(1)
	v_mul_f64 v[130:131], v[124:125], v[94:95]
	v_fmac_f64_e32 v[130:131], v[122:123], v[92:93]
	v_mul_f64 v[92:93], v[124:125], v[92:93]
	v_fma_f64 v[124:125], v[122:123], v[94:95], -v[92:93]
	ds_read_b128 v[92:95], v208 offset:7040
	ds_read_b128 v[150:153], v208 offset:7920
	v_accvgpr_read_b32 v136, a222
	v_accvgpr_read_b32 v138, a224
	;; [unrolled: 1-line block ×4, first 2 shown]
	s_waitcnt lgkmcnt(1)
	v_mul_f64 v[122:123], v[138:139], v[94:95]
	v_fmac_f64_e32 v[122:123], v[136:137], v[92:93]
	v_mul_f64 v[92:93], v[138:139], v[92:93]
	v_fma_f64 v[126:127], v[136:137], v[94:95], -v[92:93]
	v_accvgpr_read_b32 v136, a234
	v_accvgpr_read_b32 v138, a236
	;; [unrolled: 1-line block ×4, first 2 shown]
	v_mul_f64 v[144:145], v[138:139], v[98:99]
	v_mul_f64 v[92:93], v[138:139], v[96:97]
	v_fmac_f64_e32 v[144:145], v[136:137], v[96:97]
	v_fma_f64 v[136:137], v[136:137], v[98:99], -v[92:93]
	ds_read_b128 v[92:95], v208 offset:15840
	ds_read_b128 v[96:99], v208 offset:16720
	v_accvgpr_read_b32 v138, a230
	v_accvgpr_read_b32 v140, a232
	;; [unrolled: 1-line block ×4, first 2 shown]
	s_waitcnt lgkmcnt(1)
	v_mul_f64 v[160:161], v[140:141], v[94:95]
	v_fmac_f64_e32 v[160:161], v[138:139], v[92:93]
	v_mul_f64 v[92:93], v[140:141], v[92:93]
	v_fma_f64 v[140:141], v[138:139], v[94:95], -v[92:93]
	v_mul_f64 v[162:163], v[156:157], v[148:149]
	v_mul_f64 v[92:93], v[156:157], v[146:147]
	v_fmac_f64_e32 v[162:163], v[154:155], v[146:147]
	v_fma_f64 v[146:147], v[154:155], v[148:149], -v[92:93]
	v_accvgpr_read_b32 v154, a238
	v_accvgpr_read_b32 v156, a240
	;; [unrolled: 1-line block ×4, first 2 shown]
	v_mul_f64 v[138:139], v[156:157], v[152:153]
	v_mul_f64 v[92:93], v[156:157], v[150:151]
	s_waitcnt lgkmcnt(0)
	v_mul_f64 v[156:157], v[2:3], v[98:99]
	v_mul_f64 v[2:3], v[2:3], v[96:97]
	v_fmac_f64_e32 v[138:139], v[154:155], v[150:151]
	v_fmac_f64_e32 v[156:157], v[0:1], v[96:97]
	v_fma_f64 v[150:151], v[0:1], v[98:99], -v[2:3]
	ds_read_b128 v[0:3], v208 offset:21120
	v_fma_f64 v[142:143], v[154:155], v[152:153], -v[92:93]
	v_mul_f64 v[92:93], v[254:255], v[100:101]
	v_fma_f64 v[148:149], v[252:253], v[102:103], -v[92:93]
	ds_read_b128 v[96:99], v208
	ds_read_b128 v[92:95], v208 offset:880
	s_waitcnt lgkmcnt(2)
	v_mul_f64 v[158:159], v[6:7], v[2:3]
	v_fmac_f64_e32 v[158:159], v[4:5], v[0:1]
	v_mul_f64 v[0:1], v[6:7], v[0:1]
	v_fma_f64 v[154:155], v[4:5], v[2:3], -v[0:1]
	s_waitcnt lgkmcnt(1)
	v_add_f64 v[0:1], v[96:97], v[178:179]
	v_add_f64 v[2:3], v[98:99], v[176:177]
	;; [unrolled: 1-line block ×4, first 2 shown]
	v_mul_f64 v[152:153], v[254:255], v[102:103]
	v_add_f64 v[0:1], v[0:1], v[182:183]
	v_add_f64 v[2:3], v[2:3], v[180:181]
	v_fmac_f64_e32 v[152:153], v[252:253], v[100:101]
	v_add_f64 v[100:101], v[0:1], v[174:175]
	v_add_f64 v[102:103], v[2:3], v[172:173]
	ds_read_b128 v[4:7], v208 offset:1760
	ds_read_b128 v[0:3], v208 offset:2640
	s_waitcnt lgkmcnt(0)
	; wave barrier
	s_waitcnt lgkmcnt(0)
	ds_write_b128 v208, v[100:103]
	v_add_f64 v[100:101], v[178:179], -v[186:187]
	v_add_f64 v[102:103], v[174:175], -v[182:183]
	v_add_f64 v[188:189], v[100:101], v[102:103]
	v_add_f64 v[100:101], v[186:187], v[182:183]
	;; [unrolled: 1-line block ×3, first 2 shown]
	v_fma_f64 v[100:101], -0.5, v[100:101], v[96:97]
	v_fma_f64 v[102:103], -0.5, v[102:103], v[98:99]
	v_add_f64 v[168:169], v[176:177], -v[184:185]
	v_add_f64 v[170:171], v[172:173], -v[180:181]
	;; [unrolled: 1-line block ×4, first 2 shown]
	v_add_f64 v[190:191], v[168:169], v[170:171]
	v_fma_f64 v[168:169], s[14:15], v[192:193], v[100:101]
	v_fma_f64 v[170:171], s[12:13], v[196:197], v[102:103]
	v_fmac_f64_e32 v[168:169], s[0:1], v[194:195]
	v_fmac_f64_e32 v[170:171], s[16:17], v[198:199]
	;; [unrolled: 1-line block ×4, first 2 shown]
	ds_write_b128 v208, v[168:171] offset:880
	v_add_f64 v[168:169], v[178:179], v[174:175]
	v_fmac_f64_e32 v[96:97], -0.5, v[168:169]
	v_add_f64 v[168:169], v[186:187], -v[178:179]
	v_add_f64 v[170:171], v[182:183], -v[174:175]
	v_add_f64 v[174:175], v[168:169], v[170:171]
	v_add_f64 v[168:169], v[176:177], v[172:173]
	v_fmac_f64_e32 v[98:99], -0.5, v[168:169]
	v_add_f64 v[168:169], v[184:185], -v[176:177]
	v_add_f64 v[170:171], v[180:181], -v[172:173]
	v_add_f64 v[172:173], v[168:169], v[170:171]
	v_fma_f64 v[168:169], s[12:13], v[194:195], v[96:97]
	v_fma_f64 v[170:171], s[14:15], v[198:199], v[98:99]
	v_fmac_f64_e32 v[96:97], s[14:15], v[194:195]
	v_fmac_f64_e32 v[98:99], s[12:13], v[198:199]
	;; [unrolled: 1-line block ×6, first 2 shown]
	ds_write_b128 v208, v[96:99] offset:2640
	v_add_f64 v[96:97], v[92:93], v[116:117]
	v_add_f64 v[98:99], v[94:95], v[104:105]
	v_add_f64 v[96:97], v[96:97], v[132:133]
	v_add_f64 v[98:99], v[98:99], v[108:109]
	v_add_f64 v[96:97], v[96:97], v[164:165]
	v_add_f64 v[98:99], v[98:99], v[118:119]
	v_fmac_f64_e32 v[168:169], s[0:1], v[192:193]
	v_fmac_f64_e32 v[170:171], s[16:17], v[196:197]
	;; [unrolled: 1-line block ×4, first 2 shown]
	v_add_f64 v[96:97], v[96:97], v[166:167]
	v_add_f64 v[98:99], v[98:99], v[134:135]
	v_fmac_f64_e32 v[168:169], s[8:9], v[174:175]
	v_fmac_f64_e32 v[170:171], s[8:9], v[172:173]
	v_fmac_f64_e32 v[100:101], s[16:17], v[194:195]
	v_fmac_f64_e32 v[102:103], s[0:1], v[198:199]
	ds_write_b128 v208, v[96:99] offset:4400
	v_add_f64 v[96:97], v[116:117], -v[132:133]
	v_add_f64 v[98:99], v[166:167], -v[164:165]
	ds_write_b128 v208, v[168:171] offset:1760
	v_fmac_f64_e32 v[100:101], s[8:9], v[188:189]
	v_fmac_f64_e32 v[102:103], s[8:9], v[190:191]
	v_add_f64 v[168:169], v[96:97], v[98:99]
	v_add_f64 v[96:97], v[132:133], v[164:165]
	;; [unrolled: 1-line block ×3, first 2 shown]
	ds_write_b128 v208, v[100:103] offset:3520
	v_fma_f64 v[96:97], -0.5, v[96:97], v[92:93]
	v_fma_f64 v[98:99], -0.5, v[98:99], v[94:95]
	v_add_f64 v[100:101], v[104:105], -v[108:109]
	v_add_f64 v[102:103], v[134:135], -v[118:119]
	;; [unrolled: 1-line block ×4, first 2 shown]
	v_add_f64 v[170:171], v[100:101], v[102:103]
	v_add_f64 v[174:175], v[108:109], -v[118:119]
	v_fma_f64 v[100:101], s[14:15], v[172:173], v[96:97]
	v_fma_f64 v[102:103], s[12:13], v[176:177], v[98:99]
	v_add_f64 v[178:179], v[132:133], -v[164:165]
	v_fmac_f64_e32 v[100:101], s[0:1], v[174:175]
	v_fmac_f64_e32 v[102:103], s[16:17], v[178:179]
	;; [unrolled: 1-line block ×4, first 2 shown]
	ds_write_b128 v208, v[100:103] offset:5280
	v_add_f64 v[100:101], v[116:117], v[166:167]
	v_fmac_f64_e32 v[92:93], -0.5, v[100:101]
	v_add_f64 v[100:101], v[132:133], -v[116:117]
	v_add_f64 v[102:103], v[164:165], -v[166:167]
	v_fma_f64 v[132:133], s[12:13], v[174:175], v[92:93]
	v_fmac_f64_e32 v[92:93], s[14:15], v[174:175]
	v_add_f64 v[100:101], v[100:101], v[102:103]
	v_fmac_f64_e32 v[132:133], s[0:1], v[172:173]
	v_fmac_f64_e32 v[92:93], s[16:17], v[172:173]
	;; [unrolled: 1-line block ×4, first 2 shown]
	v_add_f64 v[100:101], v[104:105], v[134:135]
	v_fmac_f64_e32 v[94:95], -0.5, v[100:101]
	v_add_f64 v[100:101], v[108:109], -v[104:105]
	v_add_f64 v[102:103], v[118:119], -v[134:135]
	v_fma_f64 v[134:135], s[14:15], v[178:179], v[94:95]
	v_fmac_f64_e32 v[94:95], s[12:13], v[178:179]
	v_add_f64 v[100:101], v[100:101], v[102:103]
	v_fmac_f64_e32 v[134:135], s[16:17], v[176:177]
	v_fmac_f64_e32 v[94:95], s[0:1], v[176:177]
	;; [unrolled: 1-line block ×4, first 2 shown]
	v_add_f64 v[100:101], v[106:107], -v[120:121]
	v_add_f64 v[102:103], v[130:131], -v[128:129]
	v_add_f64 v[102:103], v[100:101], v[102:103]
	v_add_f64 v[100:101], v[120:121], v[128:129]
	v_fma_f64 v[100:101], -0.5, v[100:101], v[4:5]
	v_add_f64 v[116:117], v[110:111], -v[124:125]
	v_add_f64 v[118:119], v[112:113], -v[114:115]
	v_fma_f64 v[104:105], s[14:15], v[116:117], v[100:101]
	v_fmac_f64_e32 v[100:101], s[12:13], v[116:117]
	v_fmac_f64_e32 v[104:105], s[0:1], v[118:119]
	;; [unrolled: 1-line block ×3, first 2 shown]
	v_add_f64 v[108:109], v[106:107], v[130:131]
	v_fmac_f64_e32 v[104:105], s[8:9], v[102:103]
	v_fmac_f64_e32 v[100:101], s[8:9], v[102:103]
	v_add_f64 v[102:103], v[4:5], v[106:107]
	v_fmac_f64_e32 v[4:5], -0.5, v[108:109]
	v_add_f64 v[108:109], v[120:121], -v[106:107]
	v_add_f64 v[164:165], v[128:129], -v[130:131]
	v_add_f64 v[164:165], v[108:109], v[164:165]
	v_fma_f64 v[108:109], s[12:13], v[118:119], v[4:5]
	v_fmac_f64_e32 v[4:5], s[14:15], v[118:119]
	v_fmac_f64_e32 v[108:109], s[0:1], v[116:117]
	;; [unrolled: 1-line block ×3, first 2 shown]
	v_add_f64 v[102:103], v[102:103], v[120:121]
	v_add_f64 v[116:117], v[6:7], v[110:111]
	v_add_f64 v[102:103], v[102:103], v[128:129]
	v_add_f64 v[116:117], v[116:117], v[112:113]
	v_add_f64 v[118:119], v[116:117], v[114:115]
	v_add_f64 v[116:117], v[102:103], v[130:131]
	v_add_f64 v[102:103], v[112:113], v[114:115]
	v_fma_f64 v[102:103], -0.5, v[102:103], v[6:7]
	v_add_f64 v[130:131], v[106:107], -v[130:131]
	v_add_f64 v[120:121], v[120:121], -v[128:129]
	v_add_f64 v[106:107], v[110:111], -v[112:113]
	v_add_f64 v[128:129], v[124:125], -v[114:115]
	v_add_f64 v[128:129], v[106:107], v[128:129]
	v_fma_f64 v[106:107], s[12:13], v[130:131], v[102:103]
	v_fmac_f64_e32 v[102:103], s[14:15], v[130:131]
	v_fmac_f64_e32 v[106:107], s[16:17], v[120:121]
	;; [unrolled: 1-line block ×5, first 2 shown]
	v_add_f64 v[128:129], v[110:111], v[124:125]
	v_fmac_f64_e32 v[6:7], -0.5, v[128:129]
	v_add_f64 v[110:111], v[112:113], -v[110:111]
	v_add_f64 v[112:113], v[114:115], -v[124:125]
	v_add_f64 v[112:113], v[110:111], v[112:113]
	v_fma_f64 v[110:111], s[14:15], v[120:121], v[6:7]
	v_fmac_f64_e32 v[6:7], s[12:13], v[120:121]
	v_fmac_f64_e32 v[110:111], s[16:17], v[130:131]
	;; [unrolled: 1-line block ×5, first 2 shown]
	v_add_f64 v[112:113], v[122:123], -v[144:145]
	v_add_f64 v[114:115], v[162:163], -v[160:161]
	v_add_f64 v[114:115], v[112:113], v[114:115]
	v_add_f64 v[112:113], v[144:145], v[160:161]
	v_fma_f64 v[112:113], -0.5, v[112:113], v[0:1]
	v_add_f64 v[128:129], v[126:127], -v[146:147]
	v_add_f64 v[130:131], v[136:137], -v[140:141]
	v_fma_f64 v[120:121], s[14:15], v[128:129], v[112:113]
	v_fmac_f64_e32 v[112:113], s[12:13], v[128:129]
	v_add_f64 v[118:119], v[118:119], v[124:125]
	v_fmac_f64_e32 v[120:121], s[0:1], v[130:131]
	v_fmac_f64_e32 v[112:113], s[16:17], v[130:131]
	v_add_f64 v[124:125], v[122:123], v[162:163]
	v_fmac_f64_e32 v[108:109], s[8:9], v[164:165]
	v_fmac_f64_e32 v[4:5], s[8:9], v[164:165]
	;; [unrolled: 1-line block ×4, first 2 shown]
	v_add_f64 v[114:115], v[0:1], v[122:123]
	v_fmac_f64_e32 v[0:1], -0.5, v[124:125]
	v_add_f64 v[124:125], v[144:145], -v[122:123]
	v_add_f64 v[164:165], v[160:161], -v[162:163]
	v_add_f64 v[164:165], v[124:125], v[164:165]
	v_fma_f64 v[124:125], s[12:13], v[130:131], v[0:1]
	v_fmac_f64_e32 v[0:1], s[14:15], v[130:131]
	v_fmac_f64_e32 v[124:125], s[0:1], v[128:129]
	v_fmac_f64_e32 v[0:1], s[16:17], v[128:129]
	v_add_f64 v[114:115], v[114:115], v[144:145]
	v_add_f64 v[128:129], v[2:3], v[126:127]
	;; [unrolled: 1-line block ×7, first 2 shown]
	v_fma_f64 v[114:115], -0.5, v[114:115], v[2:3]
	v_add_f64 v[162:163], v[122:123], -v[162:163]
	v_add_f64 v[144:145], v[144:145], -v[160:161]
	;; [unrolled: 1-line block ×4, first 2 shown]
	v_add_f64 v[160:161], v[122:123], v[160:161]
	v_fma_f64 v[122:123], s[12:13], v[162:163], v[114:115]
	v_fmac_f64_e32 v[114:115], s[14:15], v[162:163]
	v_fmac_f64_e32 v[122:123], s[16:17], v[144:145]
	;; [unrolled: 1-line block ×5, first 2 shown]
	v_add_f64 v[160:161], v[126:127], v[146:147]
	v_fmac_f64_e32 v[2:3], -0.5, v[160:161]
	v_add_f64 v[126:127], v[136:137], -v[126:127]
	v_add_f64 v[136:137], v[140:141], -v[146:147]
	v_add_f64 v[136:137], v[126:127], v[136:137]
	v_fma_f64 v[126:127], s[14:15], v[144:145], v[2:3]
	v_fmac_f64_e32 v[2:3], s[12:13], v[144:145]
	v_fmac_f64_e32 v[126:127], s[16:17], v[162:163]
	;; [unrolled: 1-line block ×5, first 2 shown]
	v_add_f64 v[136:137], v[152:153], v[156:157]
	ds_write_b128 v208, v[132:135] offset:6160
	v_add_f64 v[132:133], v[138:139], -v[152:153]
	v_add_f64 v[134:135], v[158:159], -v[156:157]
	v_add_f64 v[134:135], v[132:133], v[134:135]
	v_fma_f64 v[132:133], -0.5, v[136:137], v[88:89]
	v_add_f64 v[144:145], v[142:143], -v[154:155]
	v_add_f64 v[130:131], v[130:131], v[146:147]
	v_add_f64 v[146:147], v[148:149], -v[150:151]
	v_fma_f64 v[136:137], s[14:15], v[144:145], v[132:133]
	v_fmac_f64_e32 v[132:133], s[12:13], v[144:145]
	v_fmac_f64_e32 v[136:137], s[0:1], v[146:147]
	;; [unrolled: 1-line block ×3, first 2 shown]
	v_add_f64 v[140:141], v[138:139], v[158:159]
	v_fmac_f64_e32 v[136:137], s[8:9], v[134:135]
	v_fmac_f64_e32 v[132:133], s[8:9], v[134:135]
	v_add_f64 v[134:135], v[88:89], v[138:139]
	v_fmac_f64_e32 v[88:89], -0.5, v[140:141]
	v_add_f64 v[140:141], v[152:153], -v[138:139]
	v_add_f64 v[160:161], v[156:157], -v[158:159]
	v_add_f64 v[160:161], v[140:141], v[160:161]
	v_fma_f64 v[140:141], s[12:13], v[146:147], v[88:89]
	v_fmac_f64_e32 v[88:89], s[14:15], v[146:147]
	v_fmac_f64_e32 v[140:141], s[0:1], v[144:145]
	;; [unrolled: 1-line block ×3, first 2 shown]
	v_add_f64 v[134:135], v[134:135], v[152:153]
	v_add_f64 v[144:145], v[90:91], v[142:143]
	;; [unrolled: 1-line block ×7, first 2 shown]
	v_fma_f64 v[134:135], -0.5, v[134:135], v[90:91]
	v_add_f64 v[158:159], v[138:139], -v[158:159]
	v_add_f64 v[152:153], v[152:153], -v[156:157]
	;; [unrolled: 1-line block ×4, first 2 shown]
	v_add_f64 v[156:157], v[138:139], v[156:157]
	v_fma_f64 v[138:139], s[12:13], v[158:159], v[134:135]
	v_fmac_f64_e32 v[134:135], s[14:15], v[158:159]
	v_fmac_f64_e32 v[138:139], s[16:17], v[152:153]
	;; [unrolled: 1-line block ×5, first 2 shown]
	v_add_f64 v[156:157], v[142:143], v[154:155]
	v_fmac_f64_e32 v[96:97], s[12:13], v[172:173]
	v_fmac_f64_e32 v[98:99], s[14:15], v[176:177]
	v_fmac_f64_e32 v[90:91], -0.5, v[156:157]
	v_add_f64 v[142:143], v[148:149], -v[142:143]
	v_add_f64 v[148:149], v[150:151], -v[154:155]
	v_fmac_f64_e32 v[96:97], s[16:17], v[174:175]
	v_fmac_f64_e32 v[98:99], s[0:1], v[178:179]
	v_add_f64 v[146:147], v[146:147], v[154:155]
	v_add_f64 v[154:155], v[142:143], v[148:149]
	v_fma_f64 v[142:143], s[14:15], v[152:153], v[90:91]
	v_fmac_f64_e32 v[90:91], s[12:13], v[152:153]
	v_fmac_f64_e32 v[96:97], s[8:9], v[168:169]
	;; [unrolled: 1-line block ×5, first 2 shown]
	ds_write_b128 v208, v[92:95] offset:7040
	ds_write_b128 v208, v[96:99] offset:7920
	v_accvgpr_read_b32 v92, a242
	v_fmac_f64_e32 v[124:125], s[8:9], v[164:165]
	v_fmac_f64_e32 v[0:1], s[8:9], v[164:165]
	;; [unrolled: 1-line block ×6, first 2 shown]
	ds_write_b128 v92, v[116:119] offset:8800
	ds_write_b128 v92, v[104:107] offset:9680
	;; [unrolled: 1-line block ×5, first 2 shown]
	v_accvgpr_read_b32 v4, a243
	ds_write_b128 v4, v[128:131] offset:13200
	ds_write_b128 v4, v[120:123] offset:14080
	;; [unrolled: 1-line block ×10, first 2 shown]
	s_waitcnt lgkmcnt(0)
	; wave barrier
	s_waitcnt lgkmcnt(0)
	ds_read_b128 v[100:103], v208 offset:4400
	ds_read_b128 v[0:3], v208
	ds_read_b128 v[4:7], v208 offset:880
	ds_read_b128 v[104:107], v208 offset:8800
	;; [unrolled: 1-line block ×14, first 2 shown]
	s_waitcnt lgkmcnt(14)
	v_mul_f64 v[146:147], v[14:15], v[102:103]
	v_mul_f64 v[14:15], v[14:15], v[100:101]
	v_fmac_f64_e32 v[146:147], v[12:13], v[100:101]
	v_fma_f64 v[162:163], v[12:13], v[102:103], -v[14:15]
	ds_read_b128 v[12:15], v208 offset:13200
	ds_read_b128 v[158:161], v208 offset:12320
	s_waitcnt lgkmcnt(12)
	v_mul_f64 v[172:173], v[10:11], v[114:115]
	v_mul_f64 v[10:11], v[10:11], v[112:113]
	;; [unrolled: 1-line block ×3, first 2 shown]
	s_waitcnt lgkmcnt(1)
	v_mul_f64 v[168:169], v[18:19], v[14:15]
	v_mul_f64 v[22:23], v[22:23], v[104:105]
	v_fmac_f64_e32 v[168:169], v[16:17], v[12:13]
	v_mul_f64 v[12:13], v[18:19], v[12:13]
	v_fmac_f64_e32 v[172:173], v[8:9], v[112:113]
	v_fma_f64 v[174:175], v[8:9], v[114:115], -v[10:11]
	v_mul_f64 v[8:9], v[30:31], v[120:121]
	v_fmac_f64_e32 v[164:165], v[20:21], v[104:105]
	v_fma_f64 v[166:167], v[20:21], v[106:107], -v[22:23]
	v_fma_f64 v[170:171], v[16:17], v[14:15], -v[12:13]
	ds_read_b128 v[12:15], v208 offset:19360
	ds_read_b128 v[16:19], v208 offset:20240
	v_mul_f64 v[176:177], v[30:31], v[122:123]
	v_fma_f64 v[132:133], v[28:29], v[122:123], -v[8:9]
	ds_read_b128 v[8:11], v208 offset:7040
	ds_read_b128 v[20:23], v208 offset:7920
	v_fmac_f64_e32 v[176:177], v[28:29], v[120:121]
	v_mul_f64 v[28:29], v[38:39], v[108:109]
	v_mul_f64 v[178:179], v[38:39], v[110:111]
	v_fma_f64 v[134:135], v[36:37], v[110:111], -v[28:29]
	v_mul_f64 v[38:39], v[34:35], v[126:127]
	v_mul_f64 v[28:29], v[34:35], v[124:125]
	v_fmac_f64_e32 v[38:39], v[32:33], v[124:125]
	v_fma_f64 v[136:137], v[32:33], v[126:127], -v[28:29]
	ds_read_b128 v[28:31], v208 offset:15840
	ds_read_b128 v[32:35], v208 offset:16720
	s_waitcnt lgkmcnt(3)
	v_mul_f64 v[112:113], v[58:59], v[10:11]
	v_fmac_f64_e32 v[112:113], v[56:57], v[8:9]
	v_mul_f64 v[8:9], v[58:59], v[8:9]
	v_mul_f64 v[180:181], v[26:27], v[118:119]
	;; [unrolled: 1-line block ×3, first 2 shown]
	v_fma_f64 v[104:105], v[56:57], v[10:11], -v[8:9]
	v_mul_f64 v[8:9], v[62:63], v[154:155]
	v_fmac_f64_e32 v[180:181], v[24:25], v[116:117]
	v_fma_f64 v[182:183], v[24:25], v[118:119], -v[26:27]
	ds_read_b128 v[24:27], v208 offset:21120
	v_fma_f64 v[106:107], v[60:61], v[156:157], -v[8:9]
	s_waitcnt lgkmcnt(2)
	v_mul_f64 v[8:9], v[66:67], v[28:29]
	v_fmac_f64_e32 v[178:179], v[36:37], v[108:109]
	v_fma_f64 v[108:109], v[64:65], v[30:31], -v[8:9]
	v_mul_f64 v[8:9], v[70:71], v[16:17]
	v_mul_f64 v[116:117], v[66:67], v[30:31]
	;; [unrolled: 1-line block ×3, first 2 shown]
	v_fma_f64 v[110:111], v[68:69], v[18:19], -v[8:9]
	v_mul_f64 v[8:9], v[74:75], v[20:21]
	v_fmac_f64_e32 v[66:67], v[68:69], v[16:17]
	v_fma_f64 v[68:69], v[72:73], v[22:23], -v[8:9]
	v_mul_f64 v[8:9], v[78:79], v[158:159]
	v_mul_f64 v[100:101], v[74:75], v[22:23]
	v_fma_f64 v[70:71], v[76:77], v[160:161], -v[8:9]
	s_waitcnt lgkmcnt(1)
	v_mul_f64 v[8:9], v[82:83], v[32:33]
	v_mul_f64 v[36:37], v[46:47], v[128:129]
	v_fmac_f64_e32 v[100:101], v[72:73], v[20:21]
	v_fma_f64 v[72:73], v[80:81], v[34:35], -v[8:9]
	s_waitcnt lgkmcnt(0)
	v_mul_f64 v[8:9], v[86:87], v[24:25]
	v_fma_f64 v[118:119], v[44:45], v[130:131], -v[36:37]
	v_mul_f64 v[36:37], v[42:43], v[142:143]
	v_fma_f64 v[74:75], v[84:85], v[26:27], -v[8:9]
	v_add_f64 v[8:9], v[0:1], v[146:147]
	v_mul_f64 v[126:127], v[46:47], v[130:131]
	v_fma_f64 v[120:121], v[40:41], v[144:145], -v[36:37]
	v_mul_f64 v[130:131], v[50:51], v[140:141]
	v_mul_f64 v[36:37], v[50:51], v[138:139]
	;; [unrolled: 1-line block ×3, first 2 shown]
	v_add_f64 v[8:9], v[8:9], v[164:165]
	v_fmac_f64_e32 v[50:51], v[52:53], v[12:13]
	v_mul_f64 v[12:13], v[54:55], v[12:13]
	v_add_f64 v[8:9], v[8:9], v[168:169]
	v_fma_f64 v[124:125], v[52:53], v[14:15], -v[12:13]
	v_add_f64 v[12:13], v[8:9], v[172:173]
	v_add_f64 v[8:9], v[164:165], v[168:169]
	v_fma_f64 v[8:9], -0.5, v[8:9], v[0:1]
	v_add_f64 v[10:11], v[162:163], -v[174:175]
	v_fma_f64 v[16:17], s[14:15], v[10:11], v[8:9]
	v_add_f64 v[14:15], v[166:167], -v[170:171]
	v_add_f64 v[18:19], v[146:147], -v[164:165]
	;; [unrolled: 1-line block ×3, first 2 shown]
	v_fmac_f64_e32 v[8:9], s[12:13], v[10:11]
	v_fmac_f64_e32 v[16:17], s[0:1], v[14:15]
	v_add_f64 v[18:19], v[18:19], v[20:21]
	v_fmac_f64_e32 v[8:9], s[16:17], v[14:15]
	v_fmac_f64_e32 v[16:17], s[8:9], v[18:19]
	;; [unrolled: 1-line block ×3, first 2 shown]
	v_add_f64 v[18:19], v[146:147], v[172:173]
	v_fmac_f64_e32 v[0:1], -0.5, v[18:19]
	v_fma_f64 v[20:21], s[12:13], v[14:15], v[0:1]
	v_fmac_f64_e32 v[0:1], s[14:15], v[14:15]
	v_fmac_f64_e32 v[20:21], s[0:1], v[10:11]
	;; [unrolled: 1-line block ×3, first 2 shown]
	v_add_f64 v[10:11], v[2:3], v[162:163]
	v_add_f64 v[10:11], v[10:11], v[166:167]
	;; [unrolled: 1-line block ×3, first 2 shown]
	v_mul_f64 v[102:103], v[78:79], v[160:161]
	v_mul_f64 v[78:79], v[86:87], v[26:27]
	v_add_f64 v[18:19], v[164:165], -v[146:147]
	v_add_f64 v[22:23], v[168:169], -v[172:173]
	v_add_f64 v[14:15], v[10:11], v[174:175]
	v_add_f64 v[10:11], v[166:167], v[170:171]
	v_fmac_f64_e32 v[78:79], v[84:85], v[24:25]
	v_add_f64 v[18:19], v[18:19], v[22:23]
	v_fma_f64 v[10:11], -0.5, v[10:11], v[2:3]
	v_add_f64 v[24:25], v[146:147], -v[172:173]
	v_fmac_f64_e32 v[116:117], v[64:65], v[28:29]
	v_fmac_f64_e32 v[20:21], s[8:9], v[18:19]
	;; [unrolled: 1-line block ×3, first 2 shown]
	v_fma_f64 v[18:19], s[12:13], v[24:25], v[10:11]
	v_add_f64 v[26:27], v[164:165], -v[168:169]
	v_add_f64 v[22:23], v[162:163], -v[166:167]
	;; [unrolled: 1-line block ×3, first 2 shown]
	v_fmac_f64_e32 v[10:11], s[14:15], v[24:25]
	v_fmac_f64_e32 v[18:19], s[16:17], v[26:27]
	v_add_f64 v[22:23], v[22:23], v[28:29]
	v_fmac_f64_e32 v[10:11], s[0:1], v[26:27]
	v_fmac_f64_e32 v[18:19], s[8:9], v[22:23]
	v_fmac_f64_e32 v[10:11], s[8:9], v[22:23]
	v_add_f64 v[22:23], v[162:163], v[174:175]
	v_fmac_f64_e32 v[2:3], -0.5, v[22:23]
	v_fma_f64 v[22:23], s[14:15], v[26:27], v[2:3]
	v_fmac_f64_e32 v[2:3], s[12:13], v[26:27]
	v_fmac_f64_e32 v[22:23], s[16:17], v[24:25]
	;; [unrolled: 1-line block ×3, first 2 shown]
	v_add_f64 v[24:25], v[4:5], v[176:177]
	v_add_f64 v[28:29], v[166:167], -v[162:163]
	v_add_f64 v[30:31], v[170:171], -v[174:175]
	v_add_f64 v[24:25], v[24:25], v[178:179]
	v_add_f64 v[28:29], v[28:29], v[30:31]
	;; [unrolled: 1-line block ×3, first 2 shown]
	v_fmac_f64_e32 v[22:23], s[8:9], v[28:29]
	v_fmac_f64_e32 v[2:3], s[8:9], v[28:29]
	v_add_f64 v[28:29], v[24:25], v[180:181]
	v_add_f64 v[24:25], v[178:179], v[38:39]
	v_fmac_f64_e32 v[102:103], v[76:77], v[158:159]
	v_mul_f64 v[76:77], v[82:83], v[34:35]
	v_fma_f64 v[24:25], -0.5, v[24:25], v[4:5]
	v_add_f64 v[26:27], v[132:133], -v[182:183]
	v_fma_f64 v[122:123], v[48:49], v[140:141], -v[36:37]
	v_fmac_f64_e32 v[76:77], v[80:81], v[32:33]
	v_fma_f64 v[32:33], s[14:15], v[26:27], v[24:25]
	v_add_f64 v[30:31], v[134:135], -v[136:137]
	v_add_f64 v[34:35], v[176:177], -v[178:179]
	v_add_f64 v[36:37], v[180:181], -v[38:39]
	v_fmac_f64_e32 v[24:25], s[12:13], v[26:27]
	v_fmac_f64_e32 v[32:33], s[0:1], v[30:31]
	v_add_f64 v[34:35], v[34:35], v[36:37]
	v_fmac_f64_e32 v[24:25], s[16:17], v[30:31]
	v_fmac_f64_e32 v[32:33], s[8:9], v[34:35]
	;; [unrolled: 1-line block ×3, first 2 shown]
	v_add_f64 v[34:35], v[176:177], v[180:181]
	v_fmac_f64_e32 v[4:5], -0.5, v[34:35]
	v_fma_f64 v[36:37], s[12:13], v[30:31], v[4:5]
	v_fmac_f64_e32 v[4:5], s[14:15], v[30:31]
	v_fmac_f64_e32 v[36:37], s[0:1], v[26:27]
	;; [unrolled: 1-line block ×3, first 2 shown]
	v_add_f64 v[26:27], v[6:7], v[132:133]
	v_add_f64 v[26:27], v[26:27], v[134:135]
	v_fmac_f64_e32 v[126:127], v[44:45], v[128:129]
	v_mul_f64 v[128:129], v[42:43], v[144:145]
	v_add_f64 v[26:27], v[26:27], v[136:137]
	v_fmac_f64_e32 v[128:129], v[40:41], v[142:143]
	v_add_f64 v[34:35], v[178:179], -v[176:177]
	v_add_f64 v[40:41], v[38:39], -v[180:181]
	v_add_f64 v[30:31], v[26:27], v[182:183]
	v_add_f64 v[26:27], v[134:135], v[136:137]
	v_add_f64 v[34:35], v[34:35], v[40:41]
	v_fma_f64 v[26:27], -0.5, v[26:27], v[6:7]
	v_add_f64 v[40:41], v[176:177], -v[180:181]
	v_fmac_f64_e32 v[36:37], s[8:9], v[34:35]
	v_fmac_f64_e32 v[4:5], s[8:9], v[34:35]
	v_fma_f64 v[34:35], s[12:13], v[40:41], v[26:27]
	v_add_f64 v[42:43], v[178:179], -v[38:39]
	v_add_f64 v[38:39], v[132:133], -v[134:135]
	;; [unrolled: 1-line block ×3, first 2 shown]
	v_fmac_f64_e32 v[26:27], s[14:15], v[40:41]
	v_fmac_f64_e32 v[34:35], s[16:17], v[42:43]
	v_add_f64 v[38:39], v[38:39], v[44:45]
	v_fmac_f64_e32 v[26:27], s[0:1], v[42:43]
	v_fmac_f64_e32 v[34:35], s[8:9], v[38:39]
	v_fmac_f64_e32 v[26:27], s[8:9], v[38:39]
	v_add_f64 v[38:39], v[132:133], v[182:183]
	v_fmac_f64_e32 v[6:7], -0.5, v[38:39]
	v_fma_f64 v[38:39], s[14:15], v[42:43], v[6:7]
	v_fmac_f64_e32 v[6:7], s[12:13], v[42:43]
	v_fmac_f64_e32 v[38:39], s[16:17], v[40:41]
	;; [unrolled: 1-line block ×3, first 2 shown]
	v_add_f64 v[40:41], v[96:97], v[126:127]
	v_fmac_f64_e32 v[130:131], v[48:49], v[138:139]
	v_add_f64 v[44:45], v[134:135], -v[132:133]
	v_add_f64 v[46:47], v[136:137], -v[182:183]
	v_add_f64 v[40:41], v[40:41], v[128:129]
	v_add_f64 v[44:45], v[44:45], v[46:47]
	;; [unrolled: 1-line block ×3, first 2 shown]
	v_fmac_f64_e32 v[38:39], s[8:9], v[44:45]
	v_fmac_f64_e32 v[6:7], s[8:9], v[44:45]
	v_add_f64 v[44:45], v[40:41], v[50:51]
	v_add_f64 v[40:41], v[128:129], v[130:131]
	v_fma_f64 v[40:41], -0.5, v[40:41], v[96:97]
	v_add_f64 v[42:43], v[118:119], -v[124:125]
	v_fma_f64 v[48:49], s[14:15], v[42:43], v[40:41]
	v_add_f64 v[46:47], v[120:121], -v[122:123]
	v_add_f64 v[52:53], v[126:127], -v[128:129]
	;; [unrolled: 1-line block ×3, first 2 shown]
	v_fmac_f64_e32 v[40:41], s[12:13], v[42:43]
	v_fmac_f64_e32 v[48:49], s[0:1], v[46:47]
	v_add_f64 v[52:53], v[52:53], v[54:55]
	v_fmac_f64_e32 v[40:41], s[16:17], v[46:47]
	v_fmac_f64_e32 v[48:49], s[8:9], v[52:53]
	;; [unrolled: 1-line block ×3, first 2 shown]
	v_add_f64 v[52:53], v[126:127], v[50:51]
	v_fmac_f64_e32 v[96:97], -0.5, v[52:53]
	v_fma_f64 v[52:53], s[12:13], v[46:47], v[96:97]
	v_fmac_f64_e32 v[96:97], s[14:15], v[46:47]
	v_fmac_f64_e32 v[52:53], s[0:1], v[42:43]
	;; [unrolled: 1-line block ×3, first 2 shown]
	v_add_f64 v[42:43], v[98:99], v[118:119]
	v_add_f64 v[42:43], v[42:43], v[120:121]
	;; [unrolled: 1-line block ×3, first 2 shown]
	v_add_f64 v[54:55], v[128:129], -v[126:127]
	v_add_f64 v[56:57], v[130:131], -v[50:51]
	v_add_f64 v[46:47], v[42:43], v[124:125]
	v_add_f64 v[42:43], v[120:121], v[122:123]
	v_mul_f64 v[114:115], v[62:63], v[156:157]
	v_add_f64 v[54:55], v[54:55], v[56:57]
	v_fma_f64 v[42:43], -0.5, v[42:43], v[98:99]
	v_add_f64 v[56:57], v[126:127], -v[50:51]
	v_fmac_f64_e32 v[114:115], v[60:61], v[154:155]
	v_fmac_f64_e32 v[52:53], s[8:9], v[54:55]
	;; [unrolled: 1-line block ×3, first 2 shown]
	v_fma_f64 v[50:51], s[12:13], v[56:57], v[42:43]
	v_add_f64 v[58:59], v[128:129], -v[130:131]
	v_add_f64 v[54:55], v[118:119], -v[120:121]
	;; [unrolled: 1-line block ×3, first 2 shown]
	v_fmac_f64_e32 v[42:43], s[14:15], v[56:57]
	v_fmac_f64_e32 v[50:51], s[16:17], v[58:59]
	v_add_f64 v[54:55], v[54:55], v[60:61]
	v_fmac_f64_e32 v[42:43], s[0:1], v[58:59]
	v_fmac_f64_e32 v[50:51], s[8:9], v[54:55]
	;; [unrolled: 1-line block ×3, first 2 shown]
	v_add_f64 v[54:55], v[118:119], v[124:125]
	v_fmac_f64_e32 v[98:99], -0.5, v[54:55]
	v_fma_f64 v[54:55], s[14:15], v[58:59], v[98:99]
	v_fmac_f64_e32 v[98:99], s[12:13], v[58:59]
	v_fmac_f64_e32 v[54:55], s[16:17], v[56:57]
	;; [unrolled: 1-line block ×3, first 2 shown]
	v_add_f64 v[56:57], v[92:93], v[112:113]
	v_add_f64 v[60:61], v[120:121], -v[118:119]
	v_add_f64 v[62:63], v[122:123], -v[124:125]
	v_add_f64 v[56:57], v[56:57], v[114:115]
	v_add_f64 v[60:61], v[60:61], v[62:63]
	v_add_f64 v[56:57], v[56:57], v[116:117]
	v_fmac_f64_e32 v[54:55], s[8:9], v[60:61]
	v_fmac_f64_e32 v[98:99], s[8:9], v[60:61]
	v_add_f64 v[60:61], v[56:57], v[66:67]
	v_add_f64 v[56:57], v[114:115], v[116:117]
	v_fma_f64 v[56:57], -0.5, v[56:57], v[92:93]
	v_add_f64 v[58:59], v[104:105], -v[110:111]
	v_fma_f64 v[64:65], s[14:15], v[58:59], v[56:57]
	v_add_f64 v[62:63], v[106:107], -v[108:109]
	v_add_f64 v[80:81], v[112:113], -v[114:115]
	;; [unrolled: 1-line block ×3, first 2 shown]
	v_fmac_f64_e32 v[56:57], s[12:13], v[58:59]
	v_fmac_f64_e32 v[64:65], s[0:1], v[62:63]
	v_add_f64 v[80:81], v[80:81], v[82:83]
	v_fmac_f64_e32 v[56:57], s[16:17], v[62:63]
	v_fmac_f64_e32 v[64:65], s[8:9], v[80:81]
	;; [unrolled: 1-line block ×3, first 2 shown]
	v_add_f64 v[80:81], v[112:113], v[66:67]
	v_fmac_f64_e32 v[92:93], -0.5, v[80:81]
	v_fma_f64 v[80:81], s[12:13], v[62:63], v[92:93]
	v_fmac_f64_e32 v[92:93], s[14:15], v[62:63]
	v_fmac_f64_e32 v[80:81], s[0:1], v[58:59]
	;; [unrolled: 1-line block ×3, first 2 shown]
	v_add_f64 v[58:59], v[94:95], v[104:105]
	v_add_f64 v[58:59], v[58:59], v[106:107]
	;; [unrolled: 1-line block ×3, first 2 shown]
	v_add_f64 v[82:83], v[114:115], -v[112:113]
	v_add_f64 v[84:85], v[116:117], -v[66:67]
	v_add_f64 v[62:63], v[58:59], v[110:111]
	v_add_f64 v[58:59], v[106:107], v[108:109]
	;; [unrolled: 1-line block ×3, first 2 shown]
	v_fma_f64 v[58:59], -0.5, v[58:59], v[94:95]
	v_add_f64 v[84:85], v[112:113], -v[66:67]
	v_fmac_f64_e32 v[80:81], s[8:9], v[82:83]
	v_fmac_f64_e32 v[92:93], s[8:9], v[82:83]
	v_fma_f64 v[66:67], s[12:13], v[84:85], v[58:59]
	v_add_f64 v[86:87], v[114:115], -v[116:117]
	v_add_f64 v[82:83], v[104:105], -v[106:107]
	;; [unrolled: 1-line block ×3, first 2 shown]
	v_fmac_f64_e32 v[58:59], s[14:15], v[84:85]
	v_fmac_f64_e32 v[66:67], s[16:17], v[86:87]
	v_add_f64 v[82:83], v[82:83], v[112:113]
	v_fmac_f64_e32 v[58:59], s[0:1], v[86:87]
	v_fmac_f64_e32 v[66:67], s[8:9], v[82:83]
	;; [unrolled: 1-line block ×3, first 2 shown]
	v_add_f64 v[82:83], v[104:105], v[110:111]
	v_fmac_f64_e32 v[94:95], -0.5, v[82:83]
	v_fma_f64 v[82:83], s[14:15], v[86:87], v[94:95]
	v_add_f64 v[104:105], v[106:107], -v[104:105]
	v_add_f64 v[106:107], v[108:109], -v[110:111]
	v_fmac_f64_e32 v[94:95], s[12:13], v[86:87]
	v_fmac_f64_e32 v[82:83], s[16:17], v[84:85]
	v_add_f64 v[104:105], v[104:105], v[106:107]
	v_fmac_f64_e32 v[94:95], s[0:1], v[84:85]
	v_add_f64 v[86:87], v[102:103], v[76:77]
	v_fmac_f64_e32 v[82:83], s[8:9], v[104:105]
	v_fmac_f64_e32 v[94:95], s[8:9], v[104:105]
	v_fma_f64 v[104:105], -0.5, v[86:87], v[88:89]
	v_add_f64 v[86:87], v[68:69], -v[74:75]
	v_fma_f64 v[108:109], s[14:15], v[86:87], v[104:105]
	v_add_f64 v[106:107], v[70:71], -v[72:73]
	v_add_f64 v[110:111], v[100:101], -v[102:103]
	v_add_f64 v[112:113], v[78:79], -v[76:77]
	v_fmac_f64_e32 v[104:105], s[12:13], v[86:87]
	v_fmac_f64_e32 v[108:109], s[0:1], v[106:107]
	v_add_f64 v[110:111], v[110:111], v[112:113]
	v_fmac_f64_e32 v[104:105], s[16:17], v[106:107]
	v_add_f64 v[84:85], v[88:89], v[100:101]
	v_fmac_f64_e32 v[108:109], s[8:9], v[110:111]
	v_fmac_f64_e32 v[104:105], s[8:9], v[110:111]
	v_add_f64 v[110:111], v[100:101], v[78:79]
	v_add_f64 v[84:85], v[84:85], v[102:103]
	v_fmac_f64_e32 v[88:89], -0.5, v[110:111]
	v_add_f64 v[84:85], v[84:85], v[76:77]
	v_fma_f64 v[112:113], s[12:13], v[106:107], v[88:89]
	v_add_f64 v[110:111], v[102:103], -v[100:101]
	v_add_f64 v[114:115], v[76:77], -v[78:79]
	v_fmac_f64_e32 v[88:89], s[14:15], v[106:107]
	v_add_f64 v[106:107], v[70:71], v[72:73]
	v_add_f64 v[84:85], v[84:85], v[78:79]
	v_fmac_f64_e32 v[112:113], s[0:1], v[86:87]
	v_add_f64 v[110:111], v[110:111], v[114:115]
	v_fmac_f64_e32 v[88:89], s[16:17], v[86:87]
	v_fma_f64 v[106:107], -0.5, v[106:107], v[90:91]
	v_add_f64 v[78:79], v[100:101], -v[78:79]
	v_fmac_f64_e32 v[112:113], s[8:9], v[110:111]
	v_fmac_f64_e32 v[88:89], s[8:9], v[110:111]
	v_fma_f64 v[110:111], s[12:13], v[78:79], v[106:107]
	v_add_f64 v[76:77], v[102:103], -v[76:77]
	v_add_f64 v[100:101], v[68:69], -v[70:71]
	;; [unrolled: 1-line block ×3, first 2 shown]
	v_fmac_f64_e32 v[106:107], s[14:15], v[78:79]
	v_fmac_f64_e32 v[110:111], s[16:17], v[76:77]
	v_add_f64 v[100:101], v[100:101], v[102:103]
	v_fmac_f64_e32 v[106:107], s[0:1], v[76:77]
	v_fmac_f64_e32 v[110:111], s[8:9], v[100:101]
	;; [unrolled: 1-line block ×3, first 2 shown]
	v_add_f64 v[100:101], v[68:69], v[74:75]
	v_add_f64 v[86:87], v[90:91], v[68:69]
	v_fmac_f64_e32 v[90:91], -0.5, v[100:101]
	v_add_f64 v[86:87], v[86:87], v[70:71]
	v_fma_f64 v[114:115], s[14:15], v[76:77], v[90:91]
	v_add_f64 v[68:69], v[70:71], -v[68:69]
	v_add_f64 v[70:71], v[72:73], -v[74:75]
	v_fmac_f64_e32 v[90:91], s[12:13], v[76:77]
	v_add_f64 v[86:87], v[86:87], v[72:73]
	v_fmac_f64_e32 v[114:115], s[16:17], v[78:79]
	v_add_f64 v[68:69], v[68:69], v[70:71]
	;; [unrolled: 2-line block ×3, first 2 shown]
	v_fmac_f64_e32 v[114:115], s[8:9], v[68:69]
	v_fmac_f64_e32 v[90:91], s[8:9], v[68:69]
	ds_write_b128 v208, v[12:15]
	ds_write_b128 v208, v[16:19] offset:4400
	ds_write_b128 v208, v[20:23] offset:8800
	;; [unrolled: 1-line block ×24, first 2 shown]
	s_waitcnt lgkmcnt(0)
	; wave barrier
	s_waitcnt lgkmcnt(0)
	ds_read_b128 v[4:7], v208
	v_accvgpr_read_b32 v184, a20
	v_mov_b32_e32 v148, s10
	v_mov_b32_e32 v149, s11
	v_mad_u64_u32 v[150:151], s[10:11], s6, v184, 0
	v_mov_b32_e32 v152, v151
	v_accvgpr_read_b32 v13, a3
	v_mad_u64_u32 v[0:1], s[0:1], s7, v184, v[152:153]
	v_accvgpr_read_b32 v12, a2
	v_mov_b32_e32 v151, v0
	ds_read_b128 v[0:3], v208 offset:880
	v_accvgpr_read_b32 v11, a1
	v_accvgpr_read_b32 v10, a0
	s_waitcnt lgkmcnt(1)
	v_mul_f64 v[8:9], v[12:13], v[6:7]
	v_fmac_f64_e32 v[8:9], v[10:11], v[4:5]
	s_mov_b32 s0, 0x4a19b16e
	v_mul_f64 v[4:5], v[12:13], v[4:5]
	s_mov_b32 s1, 0x3f47d4ce
	v_fma_f64 v[4:5], v[10:11], v[6:7], -v[4:5]
	v_mul_f64 v[10:11], v[4:5], s[0:1]
	v_mad_u64_u32 v[4:5], s[6:7], s4, v250, 0
	ds_read_b128 v[14:17], v208 offset:2000
	v_mov_b32_e32 v6, v5
	v_mad_u64_u32 v[6:7], s[6:7], s5, v250, v[6:7]
	v_mov_b32_e32 v5, v6
	v_lshl_add_u64 v[12:13], v[150:151], 4, v[148:149]
	v_accvgpr_read_b32 v23, a7
	v_mul_f64 v[8:9], v[8:9], s[0:1]
	v_lshl_add_u64 v[18:19], v[4:5], 4, v[12:13]
	ds_read_b128 v[4:7], v208 offset:2880
	v_accvgpr_read_b32 v22, a6
	global_store_dwordx4 v[18:19], v[8:11], off
	v_accvgpr_read_b32 v21, a5
	v_accvgpr_read_b32 v20, a4
	s_waitcnt lgkmcnt(1)
	v_mul_f64 v[8:9], v[22:23], v[16:17]
	v_mul_f64 v[10:11], v[22:23], v[14:15]
	v_fmac_f64_e32 v[8:9], v[20:21], v[14:15]
	v_fma_f64 v[10:11], v[20:21], v[16:17], -v[10:11]
	ds_read_b128 v[14:17], v208 offset:4000
	s_mul_i32 s6, s5, 0x7d
	s_mul_hi_u32 s7, s4, 0x7d
	s_add_i32 s7, s7, s6
	s_mul_i32 s6, s4, 0x7d
	s_lshl_b64 s[6:7], s[6:7], 4
	v_accvgpr_read_b32 v27, a11
	v_mul_f64 v[8:9], v[8:9], s[0:1]
	v_mul_f64 v[10:11], v[10:11], s[0:1]
	v_lshl_add_u64 v[22:23], v[18:19], 0, s[6:7]
	v_accvgpr_read_b32 v26, a10
	global_store_dwordx4 v[22:23], v[8:11], off
	ds_read_b128 v[8:11], v208 offset:4880
	v_accvgpr_read_b32 v25, a9
	v_accvgpr_read_b32 v24, a8
	s_waitcnt lgkmcnt(1)
	v_mul_f64 v[18:19], v[26:27], v[16:17]
	v_fmac_f64_e32 v[18:19], v[24:25], v[14:15]
	v_mul_f64 v[14:15], v[26:27], v[14:15]
	v_fma_f64 v[20:21], v[24:25], v[16:17], -v[14:15]
	ds_read_b128 v[14:17], v208 offset:6000
	v_accvgpr_read_b32 v31, a15
	v_mul_f64 v[18:19], v[18:19], s[0:1]
	v_mul_f64 v[20:21], v[20:21], s[0:1]
	v_lshl_add_u64 v[26:27], v[22:23], 0, s[6:7]
	v_accvgpr_read_b32 v30, a14
	global_store_dwordx4 v[26:27], v[18:21], off
	ds_read_b128 v[18:21], v208 offset:6880
	v_accvgpr_read_b32 v29, a13
	v_accvgpr_read_b32 v28, a12
	s_waitcnt lgkmcnt(1)
	v_mul_f64 v[22:23], v[30:31], v[16:17]
	v_fmac_f64_e32 v[22:23], v[28:29], v[14:15]
	v_mul_f64 v[14:15], v[30:31], v[14:15]
	v_fma_f64 v[24:25], v[28:29], v[16:17], -v[14:15]
	ds_read_b128 v[14:17], v208 offset:8000
	v_accvgpr_read_b32 v32, a86
	v_mul_f64 v[22:23], v[22:23], s[0:1]
	v_mul_f64 v[24:25], v[24:25], s[0:1]
	v_lshl_add_u64 v[30:31], v[26:27], 0, s[6:7]
	v_accvgpr_read_b32 v34, a88
	v_accvgpr_read_b32 v35, a89
	global_store_dwordx4 v[30:31], v[22:25], off
	ds_read_b128 v[22:25], v208 offset:8880
	v_accvgpr_read_b32 v33, a87
	s_waitcnt lgkmcnt(1)
	v_mul_f64 v[26:27], v[34:35], v[16:17]
	v_fmac_f64_e32 v[26:27], v[32:33], v[14:15]
	v_mul_f64 v[14:15], v[34:35], v[14:15]
	v_fma_f64 v[28:29], v[32:33], v[16:17], -v[14:15]
	ds_read_b128 v[14:17], v208 offset:10000
	v_accvgpr_read_b32 v36, a82
	v_mul_f64 v[26:27], v[26:27], s[0:1]
	v_mul_f64 v[28:29], v[28:29], s[0:1]
	v_lshl_add_u64 v[34:35], v[30:31], 0, s[6:7]
	v_accvgpr_read_b32 v38, a84
	v_accvgpr_read_b32 v39, a85
	global_store_dwordx4 v[34:35], v[26:29], off
	ds_read_b128 v[26:29], v208 offset:10880
	;; [unrolled: 15-line block ×6, first 2 shown]
	v_accvgpr_read_b32 v53, a67
	s_waitcnt lgkmcnt(1)
	v_mul_f64 v[46:47], v[54:55], v[16:17]
	v_fmac_f64_e32 v[46:47], v[52:53], v[14:15]
	v_mul_f64 v[14:15], v[54:55], v[14:15]
	v_fma_f64 v[48:49], v[52:53], v[16:17], -v[14:15]
	ds_read_b128 v[14:17], v208 offset:20000
	v_accvgpr_read_b32 v59, a45
	v_mul_f64 v[46:47], v[46:47], s[0:1]
	v_mul_f64 v[48:49], v[48:49], s[0:1]
	v_lshl_add_u64 v[54:55], v[50:51], 0, s[6:7]
	v_accvgpr_read_b32 v58, a44
	global_store_dwordx4 v[54:55], v[46:49], off
	ds_read_b128 v[46:49], v208 offset:20880
	v_accvgpr_read_b32 v57, a43
	v_accvgpr_read_b32 v56, a42
	s_waitcnt lgkmcnt(1)
	v_mul_f64 v[50:51], v[58:59], v[16:17]
	v_fmac_f64_e32 v[50:51], v[56:57], v[14:15]
	v_mul_f64 v[14:15], v[58:59], v[14:15]
	v_fma_f64 v[14:15], v[56:57], v[16:17], -v[14:15]
	v_mul_f64 v[50:51], v[50:51], s[0:1]
	v_mul_f64 v[52:53], v[14:15], s[0:1]
	v_lshl_add_u64 v[54:55], v[54:55], 0, s[6:7]
	global_store_dwordx4 v[54:55], v[50:53], off
	s_mul_hi_u32 s9, s4, 0xfffffb55
	s_mul_i32 s8, s5, 0xfffffb55
	v_accvgpr_read_b32 v50, a62
	v_accvgpr_read_b32 v52, a64
	;; [unrolled: 1-line block ×4, first 2 shown]
	v_mul_f64 v[14:15], v[52:53], v[2:3]
	v_fmac_f64_e32 v[14:15], v[50:51], v[0:1]
	v_mul_f64 v[0:1], v[52:53], v[0:1]
	s_sub_i32 s9, s9, s4
	v_fma_f64 v[0:1], v[50:51], v[2:3], -v[0:1]
	s_add_i32 s9, s9, s8
	s_mul_i32 s8, s4, 0xfffffb55
	v_mul_f64 v[14:15], v[14:15], s[0:1]
	v_mul_f64 v[16:17], v[0:1], s[0:1]
	v_lshl_add_u64 v[50:51], s[8:9], 4, v[54:55]
	global_store_dwordx4 v[50:51], v[14:17], off
	s_nop 1
	v_accvgpr_read_b32 v14, a58
	v_accvgpr_read_b32 v16, a60
	;; [unrolled: 1-line block ×4, first 2 shown]
	v_mul_f64 v[0:1], v[16:17], v[6:7]
	v_mul_f64 v[2:3], v[16:17], v[4:5]
	v_fmac_f64_e32 v[0:1], v[14:15], v[4:5]
	v_fma_f64 v[2:3], v[14:15], v[6:7], -v[2:3]
	v_accvgpr_read_b32 v14, a54
	v_mul_f64 v[0:1], v[0:1], s[0:1]
	v_mul_f64 v[2:3], v[2:3], s[0:1]
	v_lshl_add_u64 v[4:5], v[50:51], 0, s[6:7]
	v_accvgpr_read_b32 v16, a56
	v_accvgpr_read_b32 v17, a57
	global_store_dwordx4 v[4:5], v[0:3], off
	v_accvgpr_read_b32 v15, a55
	v_lshl_add_u64 v[4:5], v[4:5], 0, s[6:7]
	v_mul_f64 v[0:1], v[16:17], v[10:11]
	v_mul_f64 v[2:3], v[16:17], v[8:9]
	v_fmac_f64_e32 v[0:1], v[14:15], v[8:9]
	v_fma_f64 v[2:3], v[14:15], v[10:11], -v[2:3]
	v_accvgpr_read_b32 v6, a50
	v_mul_f64 v[0:1], v[0:1], s[0:1]
	v_mul_f64 v[2:3], v[2:3], s[0:1]
	v_accvgpr_read_b32 v8, a52
	v_accvgpr_read_b32 v9, a53
	global_store_dwordx4 v[4:5], v[0:3], off
	v_accvgpr_read_b32 v7, a51
	v_lshl_add_u64 v[4:5], v[4:5], 0, s[6:7]
	v_mul_f64 v[0:1], v[8:9], v[20:21]
	v_mul_f64 v[2:3], v[8:9], v[18:19]
	v_fmac_f64_e32 v[0:1], v[6:7], v[18:19]
	v_fma_f64 v[2:3], v[6:7], v[20:21], -v[2:3]
	v_accvgpr_read_b32 v6, a46
	v_mul_f64 v[0:1], v[0:1], s[0:1]
	v_mul_f64 v[2:3], v[2:3], s[0:1]
	v_accvgpr_read_b32 v8, a48
	v_accvgpr_read_b32 v9, a49
	global_store_dwordx4 v[4:5], v[0:3], off
	v_accvgpr_read_b32 v7, a47
	v_lshl_add_u64 v[4:5], v[4:5], 0, s[6:7]
	v_mul_f64 v[0:1], v[8:9], v[24:25]
	v_mul_f64 v[2:3], v[8:9], v[22:23]
	v_fmac_f64_e32 v[0:1], v[6:7], v[22:23]
	v_fma_f64 v[2:3], v[6:7], v[24:25], -v[2:3]
	v_accvgpr_read_b32 v6, a38
	v_mul_f64 v[0:1], v[0:1], s[0:1]
	v_mul_f64 v[2:3], v[2:3], s[0:1]
	v_accvgpr_read_b32 v8, a40
	v_accvgpr_read_b32 v9, a41
	global_store_dwordx4 v[4:5], v[0:3], off
	v_accvgpr_read_b32 v7, a39
	v_lshl_add_u64 v[4:5], v[4:5], 0, s[6:7]
	v_mul_f64 v[0:1], v[8:9], v[28:29]
	v_mul_f64 v[2:3], v[8:9], v[26:27]
	v_fmac_f64_e32 v[0:1], v[6:7], v[26:27]
	v_fma_f64 v[2:3], v[6:7], v[28:29], -v[2:3]
	v_accvgpr_read_b32 v6, a34
	v_mul_f64 v[0:1], v[0:1], s[0:1]
	v_mul_f64 v[2:3], v[2:3], s[0:1]
	v_accvgpr_read_b32 v8, a36
	v_accvgpr_read_b32 v9, a37
	global_store_dwordx4 v[4:5], v[0:3], off
	v_accvgpr_read_b32 v7, a35
	v_lshl_add_u64 v[4:5], v[4:5], 0, s[6:7]
	v_mul_f64 v[0:1], v[8:9], v[32:33]
	v_mul_f64 v[2:3], v[8:9], v[30:31]
	v_fmac_f64_e32 v[0:1], v[6:7], v[30:31]
	v_fma_f64 v[2:3], v[6:7], v[32:33], -v[2:3]
	v_accvgpr_read_b32 v6, a30
	v_mul_f64 v[0:1], v[0:1], s[0:1]
	v_mul_f64 v[2:3], v[2:3], s[0:1]
	v_accvgpr_read_b32 v8, a32
	v_accvgpr_read_b32 v9, a33
	global_store_dwordx4 v[4:5], v[0:3], off
	v_accvgpr_read_b32 v7, a31
	v_lshl_add_u64 v[4:5], v[4:5], 0, s[6:7]
	v_mul_f64 v[0:1], v[8:9], v[36:37]
	v_mul_f64 v[2:3], v[8:9], v[34:35]
	v_fmac_f64_e32 v[0:1], v[6:7], v[34:35]
	v_fma_f64 v[2:3], v[6:7], v[36:37], -v[2:3]
	v_accvgpr_read_b32 v6, a26
	v_mul_f64 v[0:1], v[0:1], s[0:1]
	v_mul_f64 v[2:3], v[2:3], s[0:1]
	v_accvgpr_read_b32 v8, a28
	v_accvgpr_read_b32 v9, a29
	global_store_dwordx4 v[4:5], v[0:3], off
	v_accvgpr_read_b32 v7, a27
	v_lshl_add_u64 v[4:5], v[4:5], 0, s[6:7]
	v_mul_f64 v[0:1], v[8:9], v[40:41]
	v_mul_f64 v[2:3], v[8:9], v[38:39]
	v_fmac_f64_e32 v[0:1], v[6:7], v[38:39]
	v_fma_f64 v[2:3], v[6:7], v[40:41], -v[2:3]
	v_accvgpr_read_b32 v6, a22
	v_mul_f64 v[0:1], v[0:1], s[0:1]
	v_mul_f64 v[2:3], v[2:3], s[0:1]
	v_accvgpr_read_b32 v8, a24
	v_accvgpr_read_b32 v9, a25
	global_store_dwordx4 v[4:5], v[0:3], off
	v_accvgpr_read_b32 v7, a23
	s_nop 0
	v_mul_f64 v[0:1], v[8:9], v[44:45]
	v_mul_f64 v[2:3], v[8:9], v[42:43]
	v_fmac_f64_e32 v[0:1], v[6:7], v[42:43]
	v_fma_f64 v[2:3], v[6:7], v[44:45], -v[2:3]
	v_accvgpr_read_b32 v8, a16
	v_mul_f64 v[0:1], v[0:1], s[0:1]
	v_mul_f64 v[2:3], v[2:3], s[0:1]
	v_lshl_add_u64 v[6:7], v[4:5], 0, s[6:7]
	v_accvgpr_read_b32 v10, a18
	v_accvgpr_read_b32 v11, a19
	global_store_dwordx4 v[6:7], v[0:3], off
	v_accvgpr_read_b32 v9, a17
	s_waitcnt lgkmcnt(0)
	v_mul_f64 v[0:1], v[10:11], v[48:49]
	v_fmac_f64_e32 v[0:1], v[8:9], v[46:47]
	v_mul_f64 v[2:3], v[0:1], s[0:1]
	v_mul_f64 v[0:1], v[10:11], v[46:47]
	v_fma_f64 v[0:1], v[8:9], v[48:49], -v[0:1]
	v_mul_f64 v[4:5], v[0:1], s[0:1]
	v_lshl_add_u64 v[0:1], v[6:7], 0, s[6:7]
	global_store_dwordx4 v[0:1], v[2:5], off
	s_and_b64 exec, exec, vcc
	s_cbranch_execz .LBB0_15
; %bb.14:
	global_load_dwordx4 v[2:5], v[210:211], off offset:1760
	ds_read_b128 v[6:9], v208 offset:1760
	ds_read_b128 v[14:17], v208 offset:3760
	v_lshl_add_u64 v[10:11], s[8:9], 4, v[0:1]
	s_movk_i32 s8, 0x1000
	v_lshl_add_u64 v[18:19], v[10:11], 0, s[6:7]
	v_add_co_u32_e32 v20, vcc, s8, v210
	s_movk_i32 s8, 0x2000
	s_nop 0
	v_addc_co_u32_e32 v21, vcc, 0, v211, vcc
	s_waitcnt vmcnt(0) lgkmcnt(1)
	v_mul_f64 v[0:1], v[8:9], v[4:5]
	v_mul_f64 v[4:5], v[6:7], v[4:5]
	v_fmac_f64_e32 v[0:1], v[6:7], v[2:3]
	v_fma_f64 v[2:3], v[2:3], v[8:9], -v[4:5]
	v_mul_f64 v[0:1], v[0:1], s[0:1]
	v_mul_f64 v[2:3], v[2:3], s[0:1]
	global_store_dwordx4 v[10:11], v[0:3], off
	global_load_dwordx4 v[0:3], v[210:211], off offset:3760
	s_waitcnt vmcnt(0) lgkmcnt(0)
	v_mul_f64 v[4:5], v[16:17], v[2:3]
	v_mul_f64 v[2:3], v[14:15], v[2:3]
	v_fmac_f64_e32 v[4:5], v[14:15], v[0:1]
	v_fma_f64 v[2:3], v[0:1], v[16:17], -v[2:3]
	v_mul_f64 v[0:1], v[4:5], s[0:1]
	v_mul_f64 v[2:3], v[2:3], s[0:1]
	global_store_dwordx4 v[18:19], v[0:3], off
	global_load_dwordx4 v[0:3], v[20:21], off offset:1664
	ds_read_b128 v[4:7], v208 offset:5760
	ds_read_b128 v[8:11], v208 offset:7760
	v_lshl_add_u64 v[14:15], v[18:19], 0, s[6:7]
	s_waitcnt vmcnt(0) lgkmcnt(1)
	v_mul_f64 v[16:17], v[6:7], v[2:3]
	v_mul_f64 v[2:3], v[4:5], v[2:3]
	v_fmac_f64_e32 v[16:17], v[4:5], v[0:1]
	v_fma_f64 v[2:3], v[0:1], v[6:7], -v[2:3]
	v_mul_f64 v[0:1], v[16:17], s[0:1]
	v_mul_f64 v[2:3], v[2:3], s[0:1]
	global_store_dwordx4 v[14:15], v[0:3], off
	global_load_dwordx4 v[0:3], v[20:21], off offset:3664
	v_add_co_u32_e32 v16, vcc, s8, v210
	v_lshl_add_u64 v[14:15], v[14:15], 0, s[6:7]
	s_nop 0
	v_addc_co_u32_e32 v17, vcc, 0, v211, vcc
	s_movk_i32 s8, 0x3000
	s_waitcnt vmcnt(0) lgkmcnt(0)
	v_mul_f64 v[4:5], v[10:11], v[2:3]
	v_mul_f64 v[2:3], v[8:9], v[2:3]
	v_fmac_f64_e32 v[4:5], v[8:9], v[0:1]
	v_fma_f64 v[2:3], v[0:1], v[10:11], -v[2:3]
	v_mul_f64 v[0:1], v[4:5], s[0:1]
	v_mul_f64 v[2:3], v[2:3], s[0:1]
	global_store_dwordx4 v[14:15], v[0:3], off
	global_load_dwordx4 v[0:3], v[16:17], off offset:1568
	ds_read_b128 v[4:7], v208 offset:9760
	ds_read_b128 v[8:11], v208 offset:11760
	v_lshl_add_u64 v[14:15], v[14:15], 0, s[6:7]
	s_waitcnt vmcnt(0) lgkmcnt(1)
	v_mul_f64 v[18:19], v[6:7], v[2:3]
	v_mul_f64 v[2:3], v[4:5], v[2:3]
	v_fmac_f64_e32 v[18:19], v[4:5], v[0:1]
	v_fma_f64 v[2:3], v[0:1], v[6:7], -v[2:3]
	v_mul_f64 v[0:1], v[18:19], s[0:1]
	v_mul_f64 v[2:3], v[2:3], s[0:1]
	global_store_dwordx4 v[14:15], v[0:3], off
	global_load_dwordx4 v[0:3], v[16:17], off offset:3568
	v_add_co_u32_e32 v16, vcc, s8, v210
	v_lshl_add_u64 v[14:15], v[14:15], 0, s[6:7]
	s_nop 0
	v_addc_co_u32_e32 v17, vcc, 0, v211, vcc
	s_movk_i32 s8, 0x4000
	s_waitcnt vmcnt(0) lgkmcnt(0)
	v_mul_f64 v[4:5], v[10:11], v[2:3]
	v_mul_f64 v[2:3], v[8:9], v[2:3]
	v_fmac_f64_e32 v[4:5], v[8:9], v[0:1]
	v_fma_f64 v[2:3], v[0:1], v[10:11], -v[2:3]
	v_mul_f64 v[0:1], v[4:5], s[0:1]
	v_mul_f64 v[2:3], v[2:3], s[0:1]
	global_store_dwordx4 v[14:15], v[0:3], off
	global_load_dwordx4 v[0:3], v[16:17], off offset:1472
	ds_read_b128 v[4:7], v208 offset:13760
	ds_read_b128 v[8:11], v208 offset:15760
	v_lshl_add_u64 v[14:15], v[14:15], 0, s[6:7]
	s_waitcnt vmcnt(0) lgkmcnt(1)
	v_mul_f64 v[18:19], v[6:7], v[2:3]
	v_mul_f64 v[2:3], v[4:5], v[2:3]
	v_fmac_f64_e32 v[18:19], v[4:5], v[0:1]
	v_fma_f64 v[2:3], v[0:1], v[6:7], -v[2:3]
	v_mul_f64 v[0:1], v[18:19], s[0:1]
	v_mul_f64 v[2:3], v[2:3], s[0:1]
	global_store_dwordx4 v[14:15], v[0:3], off
	global_load_dwordx4 v[0:3], v[16:17], off offset:3472
	v_add_co_u32_e32 v16, vcc, s8, v210
	v_lshl_add_u64 v[14:15], v[14:15], 0, s[6:7]
	s_nop 0
	v_addc_co_u32_e32 v17, vcc, 0, v211, vcc
	s_waitcnt vmcnt(0) lgkmcnt(0)
	v_mul_f64 v[4:5], v[10:11], v[2:3]
	v_mul_f64 v[2:3], v[8:9], v[2:3]
	v_fmac_f64_e32 v[4:5], v[8:9], v[0:1]
	v_fma_f64 v[2:3], v[0:1], v[10:11], -v[2:3]
	v_mul_f64 v[0:1], v[4:5], s[0:1]
	v_mul_f64 v[2:3], v[2:3], s[0:1]
	global_store_dwordx4 v[14:15], v[0:3], off
	global_load_dwordx4 v[0:3], v[16:17], off offset:1376
	ds_read_b128 v[4:7], v208 offset:17760
	ds_read_b128 v[8:11], v208 offset:19760
	v_lshl_add_u64 v[14:15], v[14:15], 0, s[6:7]
	s_waitcnt vmcnt(0) lgkmcnt(1)
	v_mul_f64 v[18:19], v[6:7], v[2:3]
	v_mul_f64 v[2:3], v[4:5], v[2:3]
	v_fmac_f64_e32 v[18:19], v[4:5], v[0:1]
	v_fma_f64 v[2:3], v[0:1], v[6:7], -v[2:3]
	v_mul_f64 v[0:1], v[18:19], s[0:1]
	v_mul_f64 v[2:3], v[2:3], s[0:1]
	global_store_dwordx4 v[14:15], v[0:3], off
	global_load_dwordx4 v[0:3], v[16:17], off offset:3376
	v_or_b32_e32 v16, 0x550, v250
	v_lshl_add_u64 v[4:5], v[14:15], 0, s[6:7]
	v_lshlrev_b32_e32 v17, 4, v16
	s_waitcnt vmcnt(0) lgkmcnt(0)
	v_mul_f64 v[6:7], v[10:11], v[2:3]
	v_mul_f64 v[2:3], v[8:9], v[2:3]
	v_fmac_f64_e32 v[6:7], v[8:9], v[0:1]
	v_fma_f64 v[2:3], v[0:1], v[10:11], -v[2:3]
	v_mul_f64 v[0:1], v[6:7], s[0:1]
	v_mul_f64 v[2:3], v[2:3], s[0:1]
	global_store_dwordx4 v[4:5], v[0:3], off
	global_load_dwordx4 v[0:3], v17, s[2:3]
	ds_read_b128 v[4:7], v208 offset:21760
	v_mad_u64_u32 v[8:9], s[2:3], s4, v16, 0
	v_mov_b32_e32 v10, v9
	v_mad_u64_u32 v[10:11], s[2:3], s5, v16, v[10:11]
	v_mov_b32_e32 v9, v10
	s_waitcnt vmcnt(0) lgkmcnt(0)
	v_mul_f64 v[10:11], v[6:7], v[2:3]
	v_mul_f64 v[2:3], v[4:5], v[2:3]
	v_fmac_f64_e32 v[10:11], v[4:5], v[0:1]
	v_fma_f64 v[2:3], v[0:1], v[6:7], -v[2:3]
	v_mul_f64 v[0:1], v[10:11], s[0:1]
	v_mul_f64 v[2:3], v[2:3], s[0:1]
	v_lshl_add_u64 v[4:5], v[8:9], 4, v[12:13]
	global_store_dwordx4 v[4:5], v[0:3], off
.LBB0_15:
	s_endpgm
	.section	.rodata,"a",@progbits
	.p2align	6, 0x0
	.amdhsa_kernel bluestein_single_fwd_len1375_dim1_dp_op_CI_CI
		.amdhsa_group_segment_fixed_size 22000
		.amdhsa_private_segment_fixed_size 0
		.amdhsa_kernarg_size 104
		.amdhsa_user_sgpr_count 2
		.amdhsa_user_sgpr_dispatch_ptr 0
		.amdhsa_user_sgpr_queue_ptr 0
		.amdhsa_user_sgpr_kernarg_segment_ptr 1
		.amdhsa_user_sgpr_dispatch_id 0
		.amdhsa_user_sgpr_kernarg_preload_length 0
		.amdhsa_user_sgpr_kernarg_preload_offset 0
		.amdhsa_user_sgpr_private_segment_size 0
		.amdhsa_uses_dynamic_stack 0
		.amdhsa_enable_private_segment 0
		.amdhsa_system_sgpr_workgroup_id_x 1
		.amdhsa_system_sgpr_workgroup_id_y 0
		.amdhsa_system_sgpr_workgroup_id_z 0
		.amdhsa_system_sgpr_workgroup_info 0
		.amdhsa_system_vgpr_workitem_id 0
		.amdhsa_next_free_vgpr 500
		.amdhsa_next_free_sgpr 40
		.amdhsa_accum_offset 256
		.amdhsa_reserve_vcc 1
		.amdhsa_float_round_mode_32 0
		.amdhsa_float_round_mode_16_64 0
		.amdhsa_float_denorm_mode_32 3
		.amdhsa_float_denorm_mode_16_64 3
		.amdhsa_dx10_clamp 1
		.amdhsa_ieee_mode 1
		.amdhsa_fp16_overflow 0
		.amdhsa_tg_split 0
		.amdhsa_exception_fp_ieee_invalid_op 0
		.amdhsa_exception_fp_denorm_src 0
		.amdhsa_exception_fp_ieee_div_zero 0
		.amdhsa_exception_fp_ieee_overflow 0
		.amdhsa_exception_fp_ieee_underflow 0
		.amdhsa_exception_fp_ieee_inexact 0
		.amdhsa_exception_int_div_zero 0
	.end_amdhsa_kernel
	.text
.Lfunc_end0:
	.size	bluestein_single_fwd_len1375_dim1_dp_op_CI_CI, .Lfunc_end0-bluestein_single_fwd_len1375_dim1_dp_op_CI_CI
                                        ; -- End function
	.section	.AMDGPU.csdata,"",@progbits
; Kernel info:
; codeLenInByte = 44624
; NumSgprs: 46
; NumVgprs: 256
; NumAgprs: 244
; TotalNumVgprs: 500
; ScratchSize: 0
; MemoryBound: 0
; FloatMode: 240
; IeeeMode: 1
; LDSByteSize: 22000 bytes/workgroup (compile time only)
; SGPRBlocks: 5
; VGPRBlocks: 62
; NumSGPRsForWavesPerEU: 46
; NumVGPRsForWavesPerEU: 500
; AccumOffset: 256
; Occupancy: 1
; WaveLimiterHint : 1
; COMPUTE_PGM_RSRC2:SCRATCH_EN: 0
; COMPUTE_PGM_RSRC2:USER_SGPR: 2
; COMPUTE_PGM_RSRC2:TRAP_HANDLER: 0
; COMPUTE_PGM_RSRC2:TGID_X_EN: 1
; COMPUTE_PGM_RSRC2:TGID_Y_EN: 0
; COMPUTE_PGM_RSRC2:TGID_Z_EN: 0
; COMPUTE_PGM_RSRC2:TIDIG_COMP_CNT: 0
; COMPUTE_PGM_RSRC3_GFX90A:ACCUM_OFFSET: 63
; COMPUTE_PGM_RSRC3_GFX90A:TG_SPLIT: 0
	.text
	.p2alignl 6, 3212836864
	.fill 256, 4, 3212836864
	.type	__hip_cuid_a55fe7714b510254,@object ; @__hip_cuid_a55fe7714b510254
	.section	.bss,"aw",@nobits
	.globl	__hip_cuid_a55fe7714b510254
__hip_cuid_a55fe7714b510254:
	.byte	0                               ; 0x0
	.size	__hip_cuid_a55fe7714b510254, 1

	.ident	"AMD clang version 19.0.0git (https://github.com/RadeonOpenCompute/llvm-project roc-6.4.0 25133 c7fe45cf4b819c5991fe208aaa96edf142730f1d)"
	.section	".note.GNU-stack","",@progbits
	.addrsig
	.addrsig_sym __hip_cuid_a55fe7714b510254
	.amdgpu_metadata
---
amdhsa.kernels:
  - .agpr_count:     244
    .args:
      - .actual_access:  read_only
        .address_space:  global
        .offset:         0
        .size:           8
        .value_kind:     global_buffer
      - .actual_access:  read_only
        .address_space:  global
        .offset:         8
        .size:           8
        .value_kind:     global_buffer
      - .actual_access:  read_only
        .address_space:  global
        .offset:         16
        .size:           8
        .value_kind:     global_buffer
      - .actual_access:  read_only
        .address_space:  global
        .offset:         24
        .size:           8
        .value_kind:     global_buffer
      - .actual_access:  read_only
        .address_space:  global
        .offset:         32
        .size:           8
        .value_kind:     global_buffer
      - .offset:         40
        .size:           8
        .value_kind:     by_value
      - .address_space:  global
        .offset:         48
        .size:           8
        .value_kind:     global_buffer
      - .address_space:  global
        .offset:         56
        .size:           8
        .value_kind:     global_buffer
      - .address_space:  global
        .offset:         64
        .size:           8
        .value_kind:     global_buffer
      - .address_space:  global
        .offset:         72
        .size:           8
        .value_kind:     global_buffer
      - .offset:         80
        .size:           4
        .value_kind:     by_value
      - .address_space:  global
        .offset:         88
        .size:           8
        .value_kind:     global_buffer
      - .address_space:  global
        .offset:         96
        .size:           8
        .value_kind:     global_buffer
    .group_segment_fixed_size: 22000
    .kernarg_segment_align: 8
    .kernarg_segment_size: 104
    .language:       OpenCL C
    .language_version:
      - 2
      - 0
    .max_flat_workgroup_size: 55
    .name:           bluestein_single_fwd_len1375_dim1_dp_op_CI_CI
    .private_segment_fixed_size: 0
    .sgpr_count:     46
    .sgpr_spill_count: 0
    .symbol:         bluestein_single_fwd_len1375_dim1_dp_op_CI_CI.kd
    .uniform_work_group_size: 1
    .uses_dynamic_stack: false
    .vgpr_count:     500
    .vgpr_spill_count: 0
    .wavefront_size: 64
amdhsa.target:   amdgcn-amd-amdhsa--gfx950
amdhsa.version:
  - 1
  - 2
...

	.end_amdgpu_metadata
